;; amdgpu-corpus repo=ROCm/rocFFT kind=compiled arch=gfx906 opt=O3
	.text
	.amdgcn_target "amdgcn-amd-amdhsa--gfx906"
	.amdhsa_code_object_version 6
	.protected	fft_rtc_fwd_len2000_factors_5_5_5_16_wgs_125_tpt_125_halfLds_dp_op_CI_CI_unitstride_sbrr_C2R_dirReg ; -- Begin function fft_rtc_fwd_len2000_factors_5_5_5_16_wgs_125_tpt_125_halfLds_dp_op_CI_CI_unitstride_sbrr_C2R_dirReg
	.globl	fft_rtc_fwd_len2000_factors_5_5_5_16_wgs_125_tpt_125_halfLds_dp_op_CI_CI_unitstride_sbrr_C2R_dirReg
	.p2align	8
	.type	fft_rtc_fwd_len2000_factors_5_5_5_16_wgs_125_tpt_125_halfLds_dp_op_CI_CI_unitstride_sbrr_C2R_dirReg,@function
fft_rtc_fwd_len2000_factors_5_5_5_16_wgs_125_tpt_125_halfLds_dp_op_CI_CI_unitstride_sbrr_C2R_dirReg: ; @fft_rtc_fwd_len2000_factors_5_5_5_16_wgs_125_tpt_125_halfLds_dp_op_CI_CI_unitstride_sbrr_C2R_dirReg
; %bb.0:
	s_load_dwordx4 s[8:11], s[4:5], 0x58
	s_load_dwordx4 s[12:15], s[4:5], 0x0
	;; [unrolled: 1-line block ×3, first 2 shown]
	v_mul_u32_u24_e32 v1, 0x20d, v0
	v_add_u32_sdwa v5, s6, v1 dst_sel:DWORD dst_unused:UNUSED_PAD src0_sel:DWORD src1_sel:WORD_1
	v_mov_b32_e32 v3, 0
	s_waitcnt lgkmcnt(0)
	v_cmp_lt_u64_e64 s[0:1], s[14:15], 2
	v_mov_b32_e32 v1, 0
	v_mov_b32_e32 v6, v3
	s_and_b64 vcc, exec, s[0:1]
	v_mov_b32_e32 v2, 0
	s_cbranch_vccnz .LBB0_8
; %bb.1:
	s_load_dwordx2 s[0:1], s[4:5], 0x10
	s_add_u32 s2, s18, 8
	s_addc_u32 s3, s19, 0
	s_add_u32 s6, s16, 8
	v_mov_b32_e32 v1, 0
	s_addc_u32 s7, s17, 0
	v_mov_b32_e32 v2, 0
	s_waitcnt lgkmcnt(0)
	s_add_u32 s20, s0, 8
	v_mov_b32_e32 v89, v2
	s_addc_u32 s21, s1, 0
	s_mov_b64 s[22:23], 1
	v_mov_b32_e32 v88, v1
.LBB0_2:                                ; =>This Inner Loop Header: Depth=1
	s_load_dwordx2 s[24:25], s[20:21], 0x0
                                        ; implicit-def: $vgpr92_vgpr93
	s_waitcnt lgkmcnt(0)
	v_or_b32_e32 v4, s25, v6
	v_cmp_ne_u64_e32 vcc, 0, v[3:4]
	s_and_saveexec_b64 s[0:1], vcc
	s_xor_b64 s[26:27], exec, s[0:1]
	s_cbranch_execz .LBB0_4
; %bb.3:                                ;   in Loop: Header=BB0_2 Depth=1
	v_cvt_f32_u32_e32 v4, s24
	v_cvt_f32_u32_e32 v7, s25
	s_sub_u32 s0, 0, s24
	s_subb_u32 s1, 0, s25
	v_mac_f32_e32 v4, 0x4f800000, v7
	v_rcp_f32_e32 v4, v4
	v_mul_f32_e32 v4, 0x5f7ffffc, v4
	v_mul_f32_e32 v7, 0x2f800000, v4
	v_trunc_f32_e32 v7, v7
	v_mac_f32_e32 v4, 0xcf800000, v7
	v_cvt_u32_f32_e32 v7, v7
	v_cvt_u32_f32_e32 v4, v4
	v_mul_lo_u32 v8, s0, v7
	v_mul_hi_u32 v9, s0, v4
	v_mul_lo_u32 v11, s1, v4
	v_mul_lo_u32 v10, s0, v4
	v_add_u32_e32 v8, v9, v8
	v_add_u32_e32 v8, v8, v11
	v_mul_hi_u32 v9, v4, v10
	v_mul_lo_u32 v11, v4, v8
	v_mul_hi_u32 v13, v4, v8
	v_mul_hi_u32 v12, v7, v10
	v_mul_lo_u32 v10, v7, v10
	v_mul_hi_u32 v14, v7, v8
	v_add_co_u32_e32 v9, vcc, v9, v11
	v_addc_co_u32_e32 v11, vcc, 0, v13, vcc
	v_mul_lo_u32 v8, v7, v8
	v_add_co_u32_e32 v9, vcc, v9, v10
	v_addc_co_u32_e32 v9, vcc, v11, v12, vcc
	v_addc_co_u32_e32 v10, vcc, 0, v14, vcc
	v_add_co_u32_e32 v8, vcc, v9, v8
	v_addc_co_u32_e32 v9, vcc, 0, v10, vcc
	v_add_co_u32_e32 v4, vcc, v4, v8
	v_addc_co_u32_e32 v7, vcc, v7, v9, vcc
	v_mul_lo_u32 v8, s0, v7
	v_mul_hi_u32 v9, s0, v4
	v_mul_lo_u32 v10, s1, v4
	v_mul_lo_u32 v11, s0, v4
	v_add_u32_e32 v8, v9, v8
	v_add_u32_e32 v8, v8, v10
	v_mul_lo_u32 v12, v4, v8
	v_mul_hi_u32 v13, v4, v11
	v_mul_hi_u32 v14, v4, v8
	v_mul_hi_u32 v10, v7, v11
	v_mul_lo_u32 v11, v7, v11
	v_mul_hi_u32 v9, v7, v8
	v_add_co_u32_e32 v12, vcc, v13, v12
	v_addc_co_u32_e32 v13, vcc, 0, v14, vcc
	v_mul_lo_u32 v8, v7, v8
	v_add_co_u32_e32 v11, vcc, v12, v11
	v_addc_co_u32_e32 v10, vcc, v13, v10, vcc
	v_addc_co_u32_e32 v9, vcc, 0, v9, vcc
	v_add_co_u32_e32 v8, vcc, v10, v8
	v_addc_co_u32_e32 v9, vcc, 0, v9, vcc
	v_add_co_u32_e32 v4, vcc, v4, v8
	v_addc_co_u32_e32 v9, vcc, v7, v9, vcc
	v_mad_u64_u32 v[7:8], s[0:1], v5, v9, 0
	v_mul_hi_u32 v10, v5, v4
	v_add_co_u32_e32 v11, vcc, v10, v7
	v_addc_co_u32_e32 v12, vcc, 0, v8, vcc
	v_mad_u64_u32 v[7:8], s[0:1], v6, v4, 0
	v_mad_u64_u32 v[9:10], s[0:1], v6, v9, 0
	v_add_co_u32_e32 v4, vcc, v11, v7
	v_addc_co_u32_e32 v4, vcc, v12, v8, vcc
	v_addc_co_u32_e32 v7, vcc, 0, v10, vcc
	v_add_co_u32_e32 v4, vcc, v4, v9
	v_addc_co_u32_e32 v9, vcc, 0, v7, vcc
	v_mul_lo_u32 v10, s25, v4
	v_mul_lo_u32 v11, s24, v9
	v_mad_u64_u32 v[7:8], s[0:1], s24, v4, 0
	v_add3_u32 v8, v8, v11, v10
	v_sub_u32_e32 v10, v6, v8
	v_mov_b32_e32 v11, s25
	v_sub_co_u32_e32 v7, vcc, v5, v7
	v_subb_co_u32_e64 v10, s[0:1], v10, v11, vcc
	v_subrev_co_u32_e64 v11, s[0:1], s24, v7
	v_subbrev_co_u32_e64 v10, s[0:1], 0, v10, s[0:1]
	v_cmp_le_u32_e64 s[0:1], s25, v10
	v_cndmask_b32_e64 v12, 0, -1, s[0:1]
	v_cmp_le_u32_e64 s[0:1], s24, v11
	v_cndmask_b32_e64 v11, 0, -1, s[0:1]
	v_cmp_eq_u32_e64 s[0:1], s25, v10
	v_cndmask_b32_e64 v10, v12, v11, s[0:1]
	v_add_co_u32_e64 v11, s[0:1], 2, v4
	v_addc_co_u32_e64 v12, s[0:1], 0, v9, s[0:1]
	v_add_co_u32_e64 v13, s[0:1], 1, v4
	v_addc_co_u32_e64 v14, s[0:1], 0, v9, s[0:1]
	v_subb_co_u32_e32 v8, vcc, v6, v8, vcc
	v_cmp_ne_u32_e64 s[0:1], 0, v10
	v_cmp_le_u32_e32 vcc, s25, v8
	v_cndmask_b32_e64 v10, v14, v12, s[0:1]
	v_cndmask_b32_e64 v12, 0, -1, vcc
	v_cmp_le_u32_e32 vcc, s24, v7
	v_cndmask_b32_e64 v7, 0, -1, vcc
	v_cmp_eq_u32_e32 vcc, s25, v8
	v_cndmask_b32_e32 v7, v12, v7, vcc
	v_cmp_ne_u32_e32 vcc, 0, v7
	v_cndmask_b32_e64 v7, v13, v11, s[0:1]
	v_cndmask_b32_e32 v93, v9, v10, vcc
	v_cndmask_b32_e32 v92, v4, v7, vcc
.LBB0_4:                                ;   in Loop: Header=BB0_2 Depth=1
	s_andn2_saveexec_b64 s[0:1], s[26:27]
	s_cbranch_execz .LBB0_6
; %bb.5:                                ;   in Loop: Header=BB0_2 Depth=1
	v_cvt_f32_u32_e32 v4, s24
	s_sub_i32 s26, 0, s24
	v_mov_b32_e32 v93, v3
	v_rcp_iflag_f32_e32 v4, v4
	v_mul_f32_e32 v4, 0x4f7ffffe, v4
	v_cvt_u32_f32_e32 v4, v4
	v_mul_lo_u32 v7, s26, v4
	v_mul_hi_u32 v7, v4, v7
	v_add_u32_e32 v4, v4, v7
	v_mul_hi_u32 v4, v5, v4
	v_mul_lo_u32 v7, v4, s24
	v_add_u32_e32 v8, 1, v4
	v_sub_u32_e32 v7, v5, v7
	v_subrev_u32_e32 v9, s24, v7
	v_cmp_le_u32_e32 vcc, s24, v7
	v_cndmask_b32_e32 v7, v7, v9, vcc
	v_cndmask_b32_e32 v4, v4, v8, vcc
	v_add_u32_e32 v8, 1, v4
	v_cmp_le_u32_e32 vcc, s24, v7
	v_cndmask_b32_e32 v92, v4, v8, vcc
.LBB0_6:                                ;   in Loop: Header=BB0_2 Depth=1
	s_or_b64 exec, exec, s[0:1]
	v_mul_lo_u32 v4, v93, s24
	v_mul_lo_u32 v9, v92, s25
	v_mad_u64_u32 v[7:8], s[0:1], v92, s24, 0
	s_load_dwordx2 s[0:1], s[6:7], 0x0
	s_load_dwordx2 s[24:25], s[2:3], 0x0
	v_add3_u32 v4, v8, v9, v4
	v_sub_co_u32_e32 v5, vcc, v5, v7
	v_subb_co_u32_e32 v4, vcc, v6, v4, vcc
	s_waitcnt lgkmcnt(0)
	v_mul_lo_u32 v6, s0, v4
	v_mul_lo_u32 v7, s1, v5
	v_mad_u64_u32 v[1:2], s[0:1], s0, v5, v[1:2]
	v_mul_lo_u32 v4, s24, v4
	v_mul_lo_u32 v8, s25, v5
	v_mad_u64_u32 v[88:89], s[0:1], s24, v5, v[88:89]
	s_add_u32 s22, s22, 1
	s_addc_u32 s23, s23, 0
	s_add_u32 s2, s2, 8
	v_add3_u32 v89, v8, v89, v4
	s_addc_u32 s3, s3, 0
	v_mov_b32_e32 v4, s14
	s_add_u32 s6, s6, 8
	v_mov_b32_e32 v5, s15
	s_addc_u32 s7, s7, 0
	v_cmp_ge_u64_e32 vcc, s[22:23], v[4:5]
	s_add_u32 s20, s20, 8
	v_add3_u32 v2, v7, v2, v6
	s_addc_u32 s21, s21, 0
	s_cbranch_vccnz .LBB0_9
; %bb.7:                                ;   in Loop: Header=BB0_2 Depth=1
	v_mov_b32_e32 v5, v92
	v_mov_b32_e32 v6, v93
	s_branch .LBB0_2
.LBB0_8:
	v_mov_b32_e32 v89, v2
	v_mov_b32_e32 v93, v6
	;; [unrolled: 1-line block ×4, first 2 shown]
.LBB0_9:
	s_load_dwordx2 s[4:5], s[4:5], 0x28
	s_lshl_b64 s[6:7], s[14:15], 3
	s_add_u32 s2, s18, s6
	s_addc_u32 s3, s19, s7
                                        ; implicit-def: $vgpr90
	s_waitcnt lgkmcnt(0)
	v_cmp_gt_u64_e64 s[0:1], s[4:5], v[92:93]
	v_cmp_le_u64_e32 vcc, s[4:5], v[92:93]
	s_and_saveexec_b64 s[4:5], vcc
	s_xor_b64 s[4:5], exec, s[4:5]
; %bb.10:
	s_mov_b32 s14, 0x20c49bb
	v_mul_hi_u32 v1, v0, s14
	v_mul_u32_u24_e32 v1, 0x7d, v1
	v_sub_u32_e32 v90, v0, v1
                                        ; implicit-def: $vgpr0
                                        ; implicit-def: $vgpr1_vgpr2
; %bb.11:
	s_or_saveexec_b64 s[4:5], s[4:5]
	s_load_dwordx2 s[2:3], s[2:3], 0x0
	s_xor_b64 exec, exec, s[4:5]
	s_cbranch_execz .LBB0_15
; %bb.12:
	s_add_u32 s6, s16, s6
	s_addc_u32 s7, s17, s7
	s_load_dwordx2 s[6:7], s[6:7], 0x0
	s_mov_b32 s14, 0x20c49bb
	v_mul_hi_u32 v5, v0, s14
	v_lshlrev_b64 v[1:2], 4, v[1:2]
	s_waitcnt lgkmcnt(0)
	v_mul_lo_u32 v6, s7, v92
	v_mul_lo_u32 v7, s6, v93
	v_mad_u64_u32 v[3:4], s[6:7], s6, v92, 0
	v_mul_u32_u24_e32 v5, 0x7d, v5
	v_sub_u32_e32 v90, v0, v5
	v_add3_u32 v4, v4, v7, v6
	v_lshlrev_b64 v[3:4], 4, v[3:4]
	v_mov_b32_e32 v0, s9
	v_add_co_u32_e32 v3, vcc, s8, v3
	v_addc_co_u32_e32 v0, vcc, v0, v4, vcc
	v_add_co_u32_e32 v1, vcc, v3, v1
	v_addc_co_u32_e32 v0, vcc, v0, v2, vcc
	v_lshlrev_b32_e32 v72, 4, v90
	v_add_co_u32_e32 v50, vcc, v1, v72
	v_addc_co_u32_e32 v51, vcc, 0, v0, vcc
	s_movk_i32 s6, 0x1000
	v_add_co_u32_e32 v26, vcc, s6, v50
	v_addc_co_u32_e32 v27, vcc, 0, v51, vcc
	s_movk_i32 s6, 0x2000
	;; [unrolled: 3-line block ×5, first 2 shown]
	v_add_co_u32_e32 v66, vcc, s6, v50
	s_movk_i32 s7, 0x6000
	v_addc_co_u32_e32 v67, vcc, 0, v51, vcc
	v_add_co_u32_e32 v68, vcc, s7, v50
	v_addc_co_u32_e32 v69, vcc, 0, v51, vcc
	v_add_co_u32_e32 v70, vcc, 0x7000, v50
	global_load_dwordx4 v[2:5], v[50:51], off
	global_load_dwordx4 v[6:9], v[50:51], off offset:2000
	global_load_dwordx4 v[10:13], v[50:51], off offset:4000
	;; [unrolled: 1-line block ×5, first 2 shown]
	s_nop 0
	global_load_dwordx4 v[26:29], v[34:35], off offset:3808
	global_load_dwordx4 v[30:33], v[42:43], off offset:1712
	s_nop 0
	global_load_dwordx4 v[34:37], v[42:43], off offset:3712
	global_load_dwordx4 v[38:41], v[52:53], off offset:1616
	;; [unrolled: 3-line block ×3, first 2 shown]
	v_addc_co_u32_e32 v71, vcc, 0, v51, vcc
	global_load_dwordx4 v[50:53], v[66:67], off offset:3520
	global_load_dwordx4 v[54:57], v[68:69], off offset:1424
	;; [unrolled: 1-line block ×4, first 2 shown]
	s_movk_i32 s6, 0x7c
	v_add_u32_e32 v66, 0, v72
	v_cmp_eq_u32_e32 vcc, s6, v90
	s_waitcnt vmcnt(15)
	ds_write_b128 v66, v[2:5]
	s_waitcnt vmcnt(14)
	ds_write_b128 v66, v[6:9] offset:2000
	s_waitcnt vmcnt(13)
	ds_write_b128 v66, v[10:13] offset:4000
	;; [unrolled: 2-line block ×15, first 2 shown]
	s_and_saveexec_b64 s[6:7], vcc
	s_cbranch_execz .LBB0_14
; %bb.13:
	v_add_co_u32_e32 v1, vcc, 0x7000, v1
	v_addc_co_u32_e32 v2, vcc, 0, v0, vcc
	global_load_dwordx4 v[0:3], v[1:2], off offset:3328
	v_mov_b32_e32 v4, 0
	v_mov_b32_e32 v90, 0x7c
	s_waitcnt vmcnt(0)
	ds_write_b128 v4, v[0:3] offset:32000
.LBB0_14:
	s_or_b64 exec, exec, s[6:7]
.LBB0_15:
	s_or_b64 exec, exec, s[4:5]
	v_lshlrev_b32_e32 v0, 4, v90
	v_add_u32_e32 v108, 0, v0
	s_waitcnt lgkmcnt(0)
	s_barrier
	v_sub_u32_e32 v10, 0, v0
	ds_read_b64 v[6:7], v108
	ds_read_b64 v[8:9], v10 offset:32000
	s_add_u32 s6, s12, 0x7cb0
	s_addc_u32 s7, s13, 0
	v_cmp_ne_u32_e32 vcc, 0, v90
                                        ; implicit-def: $vgpr4_vgpr5
	s_waitcnt lgkmcnt(0)
	v_add_f64 v[0:1], v[6:7], v[8:9]
	v_add_f64 v[2:3], v[6:7], -v[8:9]
	s_and_saveexec_b64 s[4:5], vcc
	s_xor_b64 s[4:5], exec, s[4:5]
	s_cbranch_execz .LBB0_17
; %bb.16:
	v_mov_b32_e32 v91, 0
	v_lshlrev_b64 v[0:1], 4, v[90:91]
	v_mov_b32_e32 v2, s7
	v_add_co_u32_e32 v0, vcc, s6, v0
	v_addc_co_u32_e32 v1, vcc, v2, v1, vcc
	global_load_dwordx4 v[2:5], v[0:1], off
	ds_read_b64 v[0:1], v10 offset:32008
	ds_read_b64 v[11:12], v108 offset:8
	v_add_f64 v[13:14], v[6:7], v[8:9]
	v_add_f64 v[8:9], v[6:7], -v[8:9]
	s_waitcnt lgkmcnt(0)
	v_add_f64 v[15:16], v[0:1], v[11:12]
	v_add_f64 v[0:1], v[11:12], -v[0:1]
	s_waitcnt vmcnt(0)
	v_fma_f64 v[6:7], -v[8:9], v[4:5], v[13:14]
	v_fma_f64 v[11:12], v[15:16], v[4:5], -v[0:1]
	v_fma_f64 v[13:14], v[8:9], v[4:5], v[13:14]
	v_fma_f64 v[17:18], v[15:16], v[4:5], v[0:1]
	;; [unrolled: 1-line block ×4, first 2 shown]
	v_fma_f64 v[0:1], -v[15:16], v[2:3], v[13:14]
	v_fma_f64 v[2:3], v[8:9], v[2:3], v[17:18]
	ds_write_b128 v10, v[4:7] offset:32000
	v_mov_b32_e32 v4, v90
	v_mov_b32_e32 v5, v91
.LBB0_17:
	s_andn2_saveexec_b64 s[4:5], s[4:5]
	s_cbranch_execz .LBB0_19
; %bb.18:
	v_mov_b32_e32 v8, 0
	ds_read_b128 v[4:7], v8 offset:16000
	s_waitcnt lgkmcnt(0)
	v_add_f64 v[11:12], v[4:5], v[4:5]
	v_mul_f64 v[13:14], v[6:7], -2.0
	v_mov_b32_e32 v4, 0
	v_mov_b32_e32 v5, 0
	ds_write_b128 v8, v[11:14] offset:16000
.LBB0_19:
	s_or_b64 exec, exec, s[4:5]
	v_lshlrev_b64 v[4:5], 4, v[4:5]
	v_mov_b32_e32 v6, s7
	v_add_co_u32_e32 v4, vcc, s6, v4
	v_addc_co_u32_e32 v5, vcc, v6, v5, vcc
	global_load_dwordx4 v[6:9], v[4:5], off offset:2000
	global_load_dwordx4 v[11:14], v[4:5], off offset:4000
	s_movk_i32 s4, 0x1000
	v_add_co_u32_e32 v23, vcc, s4, v4
	ds_write_b128 v108, v[0:3]
	v_addc_co_u32_e32 v24, vcc, 0, v5, vcc
	ds_read_b128 v[0:3], v108 offset:2000
	ds_read_b128 v[15:18], v10 offset:30000
	global_load_dwordx4 v[19:22], v[23:24], off offset:1904
	s_movk_i32 s4, 0x2000
	s_mov_b32 s16, 0x134454ff
	s_mov_b32 s17, 0x3fee6f0e
	s_waitcnt lgkmcnt(0)
	v_add_f64 v[25:26], v[0:1], v[15:16]
	v_add_f64 v[27:28], v[17:18], v[2:3]
	v_add_f64 v[29:30], v[0:1], -v[15:16]
	v_add_f64 v[0:1], v[2:3], -v[17:18]
	s_mov_b32 s15, 0xbfee6f0e
	s_mov_b32 s14, s16
	;; [unrolled: 1-line block ×6, first 2 shown]
	s_waitcnt vmcnt(2)
	v_fma_f64 v[2:3], v[29:30], v[8:9], v[25:26]
	v_fma_f64 v[15:16], v[27:28], v[8:9], v[0:1]
	v_fma_f64 v[17:18], -v[29:30], v[8:9], v[25:26]
	v_fma_f64 v[8:9], v[27:28], v[8:9], -v[0:1]
	v_fma_f64 v[0:1], -v[27:28], v[6:7], v[2:3]
	v_fma_f64 v[2:3], v[29:30], v[6:7], v[15:16]
	v_fma_f64 v[15:16], v[27:28], v[6:7], v[17:18]
	;; [unrolled: 1-line block ×3, first 2 shown]
	ds_write_b128 v108, v[0:3] offset:2000
	ds_write_b128 v10, v[15:18] offset:30000
	ds_read_b128 v[0:3], v108 offset:4000
	ds_read_b128 v[6:9], v10 offset:28000
	global_load_dwordx4 v[15:18], v[23:24], off offset:3904
	s_waitcnt lgkmcnt(0)
	v_add_f64 v[23:24], v[0:1], v[6:7]
	v_add_f64 v[25:26], v[8:9], v[2:3]
	v_add_f64 v[27:28], v[0:1], -v[6:7]
	v_add_f64 v[0:1], v[2:3], -v[8:9]
	s_waitcnt vmcnt(2)
	v_fma_f64 v[2:3], v[27:28], v[13:14], v[23:24]
	v_fma_f64 v[6:7], v[25:26], v[13:14], v[0:1]
	v_fma_f64 v[8:9], -v[27:28], v[13:14], v[23:24]
	v_fma_f64 v[13:14], v[25:26], v[13:14], -v[0:1]
	v_add_co_u32_e32 v23, vcc, s4, v4
	v_addc_co_u32_e32 v24, vcc, 0, v5, vcc
	v_fma_f64 v[0:1], -v[25:26], v[11:12], v[2:3]
	v_fma_f64 v[2:3], v[27:28], v[11:12], v[6:7]
	v_fma_f64 v[6:7], v[25:26], v[11:12], v[8:9]
	;; [unrolled: 1-line block ×3, first 2 shown]
	ds_write_b128 v108, v[0:3] offset:4000
	ds_write_b128 v10, v[6:9] offset:28000
	ds_read_b128 v[0:3], v108 offset:6000
	ds_read_b128 v[6:9], v10 offset:26000
	global_load_dwordx4 v[11:14], v[23:24], off offset:1808
	s_movk_i32 s4, 0x3000
	v_add_co_u32_e32 v4, vcc, s4, v4
	s_waitcnt lgkmcnt(0)
	v_add_f64 v[25:26], v[0:1], v[6:7]
	v_add_f64 v[27:28], v[8:9], v[2:3]
	v_add_f64 v[29:30], v[0:1], -v[6:7]
	v_add_f64 v[0:1], v[2:3], -v[8:9]
	v_addc_co_u32_e32 v5, vcc, 0, v5, vcc
	s_mov_b32 s4, 0x372fe950
	s_mov_b32 s5, 0x3fd3c6ef
	v_cmp_gt_u32_e32 vcc, 25, v90
	s_waitcnt vmcnt(2)
	v_fma_f64 v[2:3], v[29:30], v[21:22], v[25:26]
	v_fma_f64 v[6:7], v[27:28], v[21:22], v[0:1]
	v_fma_f64 v[8:9], -v[29:30], v[21:22], v[25:26]
	v_fma_f64 v[21:22], v[27:28], v[21:22], -v[0:1]
	v_fma_f64 v[0:1], -v[27:28], v[19:20], v[2:3]
	v_fma_f64 v[2:3], v[29:30], v[19:20], v[6:7]
	v_fma_f64 v[6:7], v[27:28], v[19:20], v[8:9]
	;; [unrolled: 1-line block ×3, first 2 shown]
	ds_write_b128 v108, v[0:3] offset:6000
	ds_write_b128 v10, v[6:9] offset:26000
	ds_read_b128 v[0:3], v108 offset:8000
	ds_read_b128 v[6:9], v10 offset:24000
	global_load_dwordx4 v[19:22], v[23:24], off offset:3808
	s_waitcnt lgkmcnt(0)
	v_add_f64 v[23:24], v[0:1], v[6:7]
	v_add_f64 v[25:26], v[8:9], v[2:3]
	v_add_f64 v[27:28], v[0:1], -v[6:7]
	v_add_f64 v[0:1], v[2:3], -v[8:9]
	s_waitcnt vmcnt(2)
	v_fma_f64 v[2:3], v[27:28], v[17:18], v[23:24]
	v_fma_f64 v[6:7], v[25:26], v[17:18], v[0:1]
	v_fma_f64 v[8:9], -v[27:28], v[17:18], v[23:24]
	v_fma_f64 v[17:18], v[25:26], v[17:18], -v[0:1]
	v_fma_f64 v[0:1], -v[25:26], v[15:16], v[2:3]
	v_fma_f64 v[2:3], v[27:28], v[15:16], v[6:7]
	v_fma_f64 v[6:7], v[25:26], v[15:16], v[8:9]
	;; [unrolled: 1-line block ×3, first 2 shown]
	ds_write_b128 v108, v[0:3] offset:8000
	ds_write_b128 v10, v[6:9] offset:24000
	ds_read_b128 v[0:3], v108 offset:10000
	ds_read_b128 v[6:9], v10 offset:22000
	global_load_dwordx4 v[15:18], v[4:5], off offset:1712
	s_waitcnt lgkmcnt(0)
	v_add_f64 v[4:5], v[0:1], v[6:7]
	v_add_f64 v[23:24], v[8:9], v[2:3]
	v_add_f64 v[6:7], v[0:1], -v[6:7]
	v_add_f64 v[0:1], v[2:3], -v[8:9]
	s_waitcnt vmcnt(2)
	v_fma_f64 v[2:3], v[6:7], v[13:14], v[4:5]
	v_fma_f64 v[8:9], v[23:24], v[13:14], v[0:1]
	v_fma_f64 v[4:5], -v[6:7], v[13:14], v[4:5]
	v_fma_f64 v[13:14], v[23:24], v[13:14], -v[0:1]
	v_fma_f64 v[0:1], -v[23:24], v[11:12], v[2:3]
	v_fma_f64 v[2:3], v[6:7], v[11:12], v[8:9]
	v_fma_f64 v[4:5], v[23:24], v[11:12], v[4:5]
	;; [unrolled: 1-line block ×3, first 2 shown]
	ds_write_b128 v108, v[0:3] offset:10000
	ds_write_b128 v10, v[4:7] offset:22000
	ds_read_b128 v[0:3], v108 offset:12000
	ds_read_b128 v[4:7], v10 offset:20000
	s_waitcnt lgkmcnt(0)
	v_add_f64 v[8:9], v[0:1], v[4:5]
	v_add_f64 v[11:12], v[6:7], v[2:3]
	v_add_f64 v[13:14], v[0:1], -v[4:5]
	v_add_f64 v[0:1], v[2:3], -v[6:7]
	s_waitcnt vmcnt(1)
	v_fma_f64 v[2:3], v[13:14], v[21:22], v[8:9]
	v_fma_f64 v[4:5], v[11:12], v[21:22], v[0:1]
	v_fma_f64 v[6:7], -v[13:14], v[21:22], v[8:9]
	v_fma_f64 v[8:9], v[11:12], v[21:22], -v[0:1]
	v_fma_f64 v[0:1], -v[11:12], v[19:20], v[2:3]
	v_fma_f64 v[2:3], v[13:14], v[19:20], v[4:5]
	v_fma_f64 v[4:5], v[11:12], v[19:20], v[6:7]
	;; [unrolled: 1-line block ×3, first 2 shown]
	ds_write_b128 v108, v[0:3] offset:12000
	ds_write_b128 v10, v[4:7] offset:20000
	ds_read_b128 v[0:3], v108 offset:14000
	ds_read_b128 v[4:7], v10 offset:18000
	s_waitcnt lgkmcnt(0)
	v_add_f64 v[8:9], v[0:1], v[4:5]
	v_add_f64 v[11:12], v[6:7], v[2:3]
	v_add_f64 v[13:14], v[0:1], -v[4:5]
	v_add_f64 v[0:1], v[2:3], -v[6:7]
	s_waitcnt vmcnt(0)
	v_fma_f64 v[2:3], v[13:14], v[17:18], v[8:9]
	v_fma_f64 v[4:5], v[11:12], v[17:18], v[0:1]
	v_fma_f64 v[6:7], -v[13:14], v[17:18], v[8:9]
	v_fma_f64 v[8:9], v[11:12], v[17:18], -v[0:1]
	v_fma_f64 v[0:1], -v[11:12], v[15:16], v[2:3]
	v_fma_f64 v[2:3], v[13:14], v[15:16], v[4:5]
	v_fma_f64 v[4:5], v[11:12], v[15:16], v[6:7]
	;; [unrolled: 1-line block ×3, first 2 shown]
	ds_write_b128 v108, v[0:3] offset:14000
	ds_write_b128 v10, v[4:7] offset:18000
	s_waitcnt lgkmcnt(0)
	s_barrier
	s_barrier
	ds_read_b128 v[48:51], v108
	ds_read_b128 v[52:55], v108 offset:2000
	ds_read_b128 v[16:19], v108 offset:6400
	;; [unrolled: 1-line block ×17, first 2 shown]
	s_waitcnt lgkmcnt(14)
	v_add_f64 v[76:77], v[48:49], v[16:17]
	v_add_f64 v[94:95], v[50:51], v[18:19]
	s_waitcnt lgkmcnt(11)
	v_add_f64 v[78:79], v[28:29], v[60:61]
	s_waitcnt lgkmcnt(9)
	v_add_f64 v[0:1], v[18:19], -v[70:71]
	v_add_f64 v[80:81], v[16:17], -v[28:29]
	v_add_f64 v[84:85], v[16:17], v[68:69]
	v_add_f64 v[86:87], v[28:29], -v[16:17]
	v_add_f64 v[102:103], v[16:17], -v[68:69]
	v_add_f64 v[104:105], v[28:29], -v[60:61]
	v_add_f64 v[106:107], v[18:19], -v[30:31]
	v_add_f64 v[111:112], v[18:19], v[70:71]
	v_add_f64 v[113:114], v[30:31], -v[18:19]
	v_add_f64 v[16:17], v[52:53], v[24:25]
	v_add_f64 v[18:19], v[76:77], v[28:29]
	;; [unrolled: 1-line block ×3, first 2 shown]
	v_add_f64 v[6:7], v[30:31], -v[62:63]
	v_add_f64 v[100:101], v[30:31], v[62:63]
	v_add_f64 v[30:31], v[54:55], v[26:27]
	v_add_f64 v[109:110], v[70:71], -v[62:63]
	v_add_f64 v[115:116], v[62:63], -v[70:71]
	;; [unrolled: 1-line block ×3, first 2 shown]
	v_add_f64 v[18:19], v[18:19], v[60:61]
	v_add_f64 v[28:29], v[28:29], v[62:63]
	;; [unrolled: 1-line block ×3, first 2 shown]
	v_add_f64 v[98:99], v[60:61], -v[68:69]
	v_add_f64 v[30:31], v[30:31], v[58:59]
	v_add_f64 v[121:122], v[24:25], -v[56:57]
	s_waitcnt lgkmcnt(8)
	v_add_f64 v[60:61], v[24:25], v[72:73]
	v_add_f64 v[125:126], v[56:57], -v[24:25]
	v_add_f64 v[16:17], v[18:19], v[68:69]
	v_add_f64 v[68:69], v[24:25], -v[72:73]
	v_add_f64 v[24:25], v[62:63], v[64:65]
	v_add_f64 v[18:19], v[28:29], v[70:71]
	;; [unrolled: 1-line block ×4, first 2 shown]
	v_add_f64 v[119:120], v[58:59], -v[66:67]
	v_add_f64 v[123:124], v[72:73], -v[64:65]
	;; [unrolled: 1-line block ×3, first 2 shown]
	v_add_f64 v[129:130], v[58:59], v[66:67]
	v_add_f64 v[56:57], v[56:57], -v[64:65]
	v_add_f64 v[62:63], v[26:27], -v[58:59]
	;; [unrolled: 1-line block ×5, first 2 shown]
	v_add_f64 v[24:25], v[24:25], v[72:73]
	v_fma_f64 v[72:73], v[78:79], -0.5, v[48:49]
	v_fma_f64 v[48:49], v[84:85], -0.5, v[48:49]
	v_add_f64 v[117:118], v[26:27], -v[74:75]
	v_add_f64 v[70:71], v[26:27], v[74:75]
	v_add_f64 v[26:27], v[28:29], v[74:75]
	ds_read_b128 v[94:97], v108 offset:29600
	ds_read_b128 v[28:31], v108 offset:31600
	v_fma_f64 v[74:75], v[100:101], -0.5, v[50:51]
	v_fma_f64 v[50:51], v[111:112], -0.5, v[50:51]
	;; [unrolled: 1-line block ×3, first 2 shown]
	v_add_f64 v[111:112], v[80:81], v[82:83]
	s_waitcnt lgkmcnt(5)
	v_add_f64 v[80:81], v[32:33], -v[36:37]
	v_add_f64 v[86:87], v[86:87], v[98:99]
	s_waitcnt lgkmcnt(1)
	v_add_f64 v[82:83], v[94:95], -v[40:41]
	v_add_f64 v[98:99], v[106:107], v[109:110]
	v_add_f64 v[109:110], v[113:114], v[115:116]
	v_add_f64 v[113:114], v[36:37], -v[32:33]
	v_add_f64 v[115:116], v[121:122], v[123:124]
	v_add_f64 v[121:122], v[40:41], -v[94:95]
	v_add_f64 v[123:124], v[125:126], v[127:128]
	v_add_f64 v[127:128], v[58:59], v[66:67]
	v_fma_f64 v[58:59], v[0:1], s[16:17], v[72:73]
	v_fma_f64 v[66:67], v[0:1], s[14:15], v[72:73]
	;; [unrolled: 1-line block ×3, first 2 shown]
	v_add_f64 v[78:79], v[44:45], v[32:33]
	v_add_f64 v[84:85], v[36:37], v[40:41]
	v_fma_f64 v[52:53], v[60:61], -0.5, v[52:53]
	v_fma_f64 v[60:61], v[129:130], -0.5, v[54:55]
	v_fma_f64 v[54:55], v[70:71], -0.5, v[54:55]
	v_add_f64 v[106:107], v[32:33], v[94:95]
	v_add_f64 v[129:130], v[80:81], v[82:83]
	;; [unrolled: 1-line block ×3, first 2 shown]
	v_fma_f64 v[48:49], v[6:7], s[16:17], v[48:49]
	v_fma_f64 v[80:81], v[102:103], s[14:15], v[74:75]
	;; [unrolled: 1-line block ×10, first 2 shown]
	v_add_f64 v[70:71], v[38:39], -v[42:43]
	v_fma_f64 v[0:1], v[0:1], s[8:9], v[48:49]
	v_fma_f64 v[48:49], v[104:105], s[8:9], v[80:81]
	;; [unrolled: 1-line block ×3, first 2 shown]
	v_add_f64 v[78:79], v[78:79], v[36:37]
	v_fma_f64 v[66:67], v[102:103], s[8:9], v[66:67]
	v_fma_f64 v[50:51], v[102:103], s[6:7], v[50:51]
	v_fma_f64 v[82:83], v[84:85], -0.5, v[44:45]
	v_fma_f64 v[102:103], v[119:120], s[6:7], v[72:73]
	v_fma_f64 v[104:105], v[119:120], s[8:9], v[76:77]
	;; [unrolled: 1-line block ×3, first 2 shown]
	v_fma_f64 v[44:45], v[106:107], -0.5, v[44:45]
	v_fma_f64 v[76:77], v[56:57], s[16:17], v[54:55]
	v_fma_f64 v[54:55], v[56:57], s[14:15], v[54:55]
	v_add_f64 v[100:101], v[34:35], -v[96:97]
	v_add_f64 v[125:126], v[46:47], v[34:35]
	v_add_f64 v[62:63], v[62:63], v[64:65]
	;; [unrolled: 1-line block ×3, first 2 shown]
	v_fma_f64 v[80:81], v[119:120], s[14:15], v[52:53]
	v_fma_f64 v[52:53], v[119:120], s[16:17], v[52:53]
	;; [unrolled: 1-line block ×4, first 2 shown]
	v_add_f64 v[72:73], v[78:79], v[40:41]
	v_fma_f64 v[131:132], v[68:69], s[8:9], v[76:77]
	v_fma_f64 v[54:55], v[68:69], s[6:7], v[54:55]
	;; [unrolled: 1-line block ×4, first 2 shown]
	v_add_f64 v[32:33], v[32:33], -v[94:95]
	v_fma_f64 v[106:107], v[117:118], s[6:7], v[80:81]
	v_fma_f64 v[52:53], v[117:118], s[8:9], v[52:53]
	v_add_f64 v[117:118], v[125:126], v[38:39]
	v_fma_f64 v[125:126], v[56:57], s[6:7], v[60:61]
	v_fma_f64 v[56:57], v[100:101], s[16:17], v[82:83]
	;; [unrolled: 1-line block ×3, first 2 shown]
	v_fma_f64 v[133:134], v[64:65], -0.5, v[46:47]
	v_fma_f64 v[82:83], v[98:99], s[4:5], v[48:49]
	v_add_f64 v[48:49], v[72:73], v[94:95]
	v_fma_f64 v[94:95], v[100:101], s[6:7], v[68:69]
	v_fma_f64 v[76:77], v[86:87], s[4:5], v[0:1]
	;; [unrolled: 1-line block ×4, first 2 shown]
	v_add_f64 v[50:51], v[34:35], v[96:97]
	v_fma_f64 v[44:45], v[70:71], s[6:7], v[56:57]
	v_fma_f64 v[137:138], v[70:71], s[8:9], v[60:61]
	v_fma_f64 v[80:81], v[111:112], s[4:5], v[58:59]
	v_fma_f64 v[72:73], v[111:112], s[4:5], v[6:7]
	v_fma_f64 v[74:75], v[98:99], s[4:5], v[74:75]
	v_fma_f64 v[68:69], v[115:116], s[4:5], v[102:103]
	v_fma_f64 v[70:71], v[62:63], s[4:5], v[119:120]
	v_fma_f64 v[58:59], v[62:63], s[4:5], v[125:126]
	v_fma_f64 v[62:63], v[127:128], s[4:5], v[54:55]
	v_add_f64 v[6:7], v[117:118], v[42:43]
	v_fma_f64 v[54:55], v[32:33], s[14:15], v[133:134]
	v_add_f64 v[98:99], v[36:37], -v[40:41]
	v_fma_f64 v[36:37], v[113:114], s[4:5], v[94:95]
	v_add_f64 v[94:95], v[12:13], v[2:3]
	v_add_f64 v[100:101], v[34:35], -v[38:39]
	v_add_f64 v[102:103], v[96:97], -v[42:43]
	v_fma_f64 v[40:41], v[113:114], s[4:5], v[0:1]
	v_fma_f64 v[0:1], v[50:51], -0.5, v[46:47]
	v_add_f64 v[46:47], v[20:21], v[8:9]
	v_fma_f64 v[56:57], v[115:116], s[4:5], v[104:105]
	v_add_f64 v[50:51], v[6:7], v[96:97]
	v_fma_f64 v[6:7], v[98:99], s[8:9], v[54:55]
	v_fma_f64 v[94:95], v[94:95], -0.5, v[20:21]
	s_waitcnt lgkmcnt(0)
	v_add_f64 v[104:105], v[10:11], -v[30:31]
	v_add_f64 v[100:101], v[100:101], v[102:103]
	v_fma_f64 v[54:55], v[32:33], s[16:17], v[133:134]
	v_fma_f64 v[102:103], v[98:99], s[16:17], v[0:1]
	v_add_f64 v[34:35], v[38:39], -v[34:35]
	v_add_f64 v[38:39], v[42:43], -v[96:97]
	v_fma_f64 v[0:1], v[98:99], s[14:15], v[0:1]
	v_add_f64 v[42:43], v[46:47], v[12:13]
	v_fma_f64 v[46:47], v[104:105], s[16:17], v[94:95]
	v_add_f64 v[96:97], v[14:15], -v[4:5]
	v_fma_f64 v[98:99], v[98:99], s[6:7], v[54:55]
	v_add_f64 v[111:112], v[8:9], v[28:29]
	v_fma_f64 v[102:103], v[32:33], s[8:9], v[102:103]
	v_add_f64 v[34:35], v[34:35], v[38:39]
	;; [unrolled: 2-line block ×3, first 2 shown]
	v_fma_f64 v[84:85], v[86:87], s[4:5], v[121:122]
	v_fma_f64 v[86:87], v[109:110], s[4:5], v[66:67]
	;; [unrolled: 1-line block ×3, first 2 shown]
	v_add_f64 v[106:107], v[8:9], -v[12:13]
	v_add_f64 v[109:110], v[28:29], -v[2:3]
	v_fma_f64 v[113:114], v[96:97], s[6:7], v[46:47]
	v_fma_f64 v[54:55], v[100:101], s[4:5], v[6:7]
	v_fma_f64 v[20:21], v[111:112], -0.5, v[20:21]
	v_fma_f64 v[46:47], v[100:101], s[4:5], v[98:99]
	v_fma_f64 v[42:43], v[34:35], s[4:5], v[0:1]
	v_add_f64 v[0:1], v[32:33], v[28:29]
	v_add_f64 v[32:33], v[14:15], v[4:5]
	;; [unrolled: 1-line block ×4, first 2 shown]
	v_fma_f64 v[38:39], v[34:35], s[4:5], v[102:103]
	v_fma_f64 v[34:35], v[104:105], s[14:15], v[94:95]
	;; [unrolled: 1-line block ×3, first 2 shown]
	v_add_f64 v[98:99], v[12:13], -v[8:9]
	v_add_f64 v[102:103], v[2:3], -v[28:29]
	v_add_f64 v[109:110], v[22:23], v[10:11]
	v_fma_f64 v[32:33], v[32:33], -0.5, v[22:23]
	v_add_f64 v[8:9], v[8:9], -v[28:29]
	v_add_f64 v[2:3], v[12:13], -v[2:3]
	v_fma_f64 v[12:13], v[100:101], -0.5, v[22:23]
	v_fma_f64 v[28:29], v[96:97], s[8:9], v[34:35]
	v_fma_f64 v[34:35], v[104:105], s[6:7], v[94:95]
	v_add_f64 v[22:23], v[98:99], v[102:103]
	v_fma_f64 v[20:21], v[96:97], s[16:17], v[20:21]
	v_add_f64 v[94:95], v[109:110], v[14:15]
	v_fma_f64 v[96:97], v[8:9], s[14:15], v[32:33]
	v_add_f64 v[98:99], v[10:11], -v[14:15]
	v_add_f64 v[100:101], v[30:31], -v[4:5]
	v_fma_f64 v[32:33], v[8:9], s[16:17], v[32:33]
	v_fma_f64 v[102:103], v[2:3], s[16:17], v[12:13]
	v_add_f64 v[10:11], v[14:15], -v[10:11]
	v_add_f64 v[14:15], v[4:5], -v[30:31]
	v_fma_f64 v[12:13], v[2:3], s[14:15], v[12:13]
	v_fma_f64 v[104:105], v[104:105], s[8:9], v[20:21]
	v_add_f64 v[4:5], v[94:95], v[4:5]
	v_fma_f64 v[94:95], v[2:3], s[8:9], v[96:97]
	v_add_f64 v[96:97], v[98:99], v[100:101]
	v_fma_f64 v[98:99], v[2:3], s[6:7], v[32:33]
	v_fma_f64 v[100:101], v[8:9], s[8:9], v[102:103]
	v_add_f64 v[10:11], v[10:11], v[14:15]
	v_fma_f64 v[12:13], v[8:9], s[6:7], v[12:13]
	v_fma_f64 v[6:7], v[106:107], s[4:5], v[113:114]
	v_fma_f64 v[20:21], v[106:107], s[4:5], v[28:29]
	v_fma_f64 v[28:29], v[22:23], s[4:5], v[34:35]
	v_fma_f64 v[32:33], v[22:23], s[4:5], v[104:105]
	v_add_f64 v[2:3], v[4:5], v[30:31]
	v_fma_f64 v[8:9], v[96:97], s[4:5], v[94:95]
	v_fma_f64 v[22:23], v[96:97], s[4:5], v[98:99]
	;; [unrolled: 1-line block ×4, first 2 shown]
	v_lshlrev_b32_e32 v4, 6, v90
	v_fma_f64 v[66:67], v[127:128], s[4:5], v[131:132]
	v_add_u32_e32 v4, v108, v4
	v_fma_f64 v[60:61], v[123:124], s[4:5], v[52:53]
	v_fma_f64 v[52:53], v[129:130], s[4:5], v[44:45]
	;; [unrolled: 1-line block ×3, first 2 shown]
	s_barrier
	ds_write_b128 v4, v[16:19]
	ds_write_b128 v4, v[80:83] offset:16
	ds_write_b128 v4, v[84:87] offset:32
	;; [unrolled: 1-line block ×14, first 2 shown]
	s_and_saveexec_b64 s[4:5], vcc
	s_cbranch_execz .LBB0_21
; %bb.20:
	ds_write_b128 v4, v[0:3] offset:30000
	ds_write_b128 v4, v[6:9] offset:30016
	;; [unrolled: 1-line block ×5, first 2 shown]
.LBB0_21:
	s_or_b64 exec, exec, s[4:5]
	s_waitcnt lgkmcnt(0)
	s_barrier
	ds_read_b128 v[24:27], v108
	ds_read_b128 v[14:17], v108 offset:2000
	ds_read_b128 v[76:79], v108 offset:12800
	;; [unrolled: 1-line block ×14, first 2 shown]
	s_and_saveexec_b64 s[4:5], vcc
	s_cbranch_execz .LBB0_23
; %bb.22:
	ds_read_b128 v[0:3], v108 offset:6000
	ds_read_b128 v[6:9], v108 offset:12400
	;; [unrolled: 1-line block ×5, first 2 shown]
.LBB0_23:
	s_or_b64 exec, exec, s[4:5]
	s_movk_i32 s4, 0xcd
	v_mul_lo_u16_sdwa v4, v90, s4 dst_sel:DWORD dst_unused:UNUSED_PAD src0_sel:BYTE_0 src1_sel:DWORD
	v_lshrrev_b16_e32 v85, 10, v4
	v_mul_lo_u16_e32 v4, 5, v85
	v_sub_u16_e32 v86, v90, v4
	v_mov_b32_e32 v4, 6
	v_lshlrev_b32_sdwa v5, v4, v86 dst_sel:DWORD dst_unused:UNUSED_PAD src0_sel:DWORD src1_sel:BYTE_0
	global_load_dwordx4 v[95:98], v5, s[12:13]
	global_load_dwordx4 v[99:102], v5, s[12:13] offset:16
	global_load_dwordx4 v[103:106], v5, s[12:13] offset:32
	;; [unrolled: 1-line block ×3, first 2 shown]
	v_add_u16_e32 v84, 0x7d, v90
	v_mul_lo_u16_sdwa v5, v84, s4 dst_sel:DWORD dst_unused:UNUSED_PAD src0_sel:BYTE_0 src1_sel:DWORD
	v_lshrrev_b16_e32 v87, 10, v5
	v_mul_lo_u16_e32 v5, 5, v87
	v_sub_u16_e32 v94, v84, v5
	v_lshlrev_b32_sdwa v91, v4, v94 dst_sel:DWORD dst_unused:UNUSED_PAD src0_sel:DWORD src1_sel:BYTE_0
	global_load_dwordx4 v[114:117], v91, s[12:13]
	global_load_dwordx4 v[118:121], v91, s[12:13] offset:16
	global_load_dwordx4 v[122:125], v91, s[12:13] offset:48
	;; [unrolled: 1-line block ×3, first 2 shown]
	v_add_u32_e32 v109, 0xfa, v90
	s_mov_b32 s4, 0xcccd
	v_add_u32_e32 v91, 0x177, v90
	v_mul_u32_u24_sdwa v130, v91, s4 dst_sel:DWORD dst_unused:UNUSED_PAD src0_sel:WORD_0 src1_sel:DWORD
	s_mov_b32 s6, 0x134454ff
	s_mov_b32 s7, 0x3fee6f0e
	;; [unrolled: 1-line block ×6, first 2 shown]
	s_waitcnt vmcnt(7) lgkmcnt(8)
	v_mul_f64 v[4:5], v[82:83], v[97:98]
	v_mul_f64 v[18:19], v[80:81], v[97:98]
	s_waitcnt vmcnt(5) lgkmcnt(4)
	v_mul_f64 v[97:98], v[74:75], v[105:106]
	v_fma_f64 v[4:5], v[80:81], v[95:96], -v[4:5]
	v_fma_f64 v[18:19], v[82:83], v[95:96], v[18:19]
	v_mul_f64 v[82:83], v[78:79], v[101:102]
	v_mul_f64 v[95:96], v[76:77], v[101:102]
	v_mul_u32_u24_sdwa v80, v109, s4 dst_sel:DWORD dst_unused:UNUSED_PAD src0_sel:WORD_0 src1_sel:DWORD
	v_lshrrev_b32_e32 v80, 18, v80
	v_mul_lo_u16_e32 v81, 5, v80
	v_sub_u16_e32 v81, v109, v81
	v_lshlrev_b32_e32 v107, 6, v81
	v_fma_f64 v[97:98], v[72:73], v[103:104], -v[97:98]
	v_fma_f64 v[82:83], v[76:77], v[99:100], -v[82:83]
	v_fma_f64 v[95:96], v[78:79], v[99:100], v[95:96]
	v_mul_f64 v[99:100], v[72:73], v[105:106]
	global_load_dwordx4 v[76:79], v107, s[12:13]
	s_waitcnt vmcnt(5)
	v_mul_f64 v[101:102], v[70:71], v[112:113]
	s_waitcnt vmcnt(3)
	v_mul_f64 v[105:106], v[58:59], v[120:121]
	s_mov_b32 s4, 0x4755a5e
	s_mov_b32 s5, 0x3fe2cf23
	;; [unrolled: 1-line block ×3, first 2 shown]
	v_fma_f64 v[99:100], v[74:75], v[103:104], v[99:100]
	global_load_dwordx4 v[72:75], v107, s[12:13] offset:16
	v_mul_f64 v[103:104], v[68:69], v[112:113]
	v_fma_f64 v[101:102], v[68:69], v[110:111], -v[101:102]
	v_mul_f64 v[68:69], v[66:67], v[116:117]
	v_fma_f64 v[105:106], v[56:57], v[118:119], -v[105:106]
	v_fma_f64 v[103:104], v[70:71], v[110:111], v[103:104]
	v_mul_f64 v[70:71], v[64:65], v[116:117]
	v_mul_f64 v[110:111], v[56:57], v[120:121]
	v_fma_f64 v[112:113], v[64:65], v[114:115], -v[68:69]
	s_waitcnt vmcnt(2) lgkmcnt(2)
	v_mul_f64 v[120:121], v[60:61], v[128:129]
	v_mul_f64 v[116:117], v[62:63], v[128:129]
	v_lshrrev_b32_e32 v56, 18, v130
	v_mul_lo_u16_e32 v57, 5, v56
	v_sub_u16_e32 v57, v91, v57
	v_fma_f64 v[114:115], v[66:67], v[114:115], v[70:71]
	global_load_dwordx4 v[64:67], v107, s[12:13] offset:48
	global_load_dwordx4 v[68:71], v107, s[12:13] offset:32
	v_fma_f64 v[110:111], v[58:59], v[118:119], v[110:111]
	v_mul_f64 v[58:59], v[54:55], v[124:125]
	v_mul_f64 v[118:119], v[52:53], v[124:125]
	v_fma_f64 v[62:63], v[62:63], v[126:127], v[120:121]
	v_lshlrev_b32_e32 v107, 6, v57
	v_fma_f64 v[116:117], v[60:61], v[126:127], -v[116:117]
	v_fma_f64 v[124:125], v[52:53], v[122:123], -v[58:59]
	v_fma_f64 v[118:119], v[54:55], v[122:123], v[118:119]
	global_load_dwordx4 v[52:55], v107, s[12:13]
	global_load_dwordx4 v[58:61], v107, s[12:13] offset:16
	s_waitcnt vmcnt(5)
	v_mul_f64 v[120:121], v[50:51], v[78:79]
	v_mul_f64 v[78:79], v[48:49], v[78:79]
	s_waitcnt vmcnt(4)
	v_mul_f64 v[122:123], v[46:47], v[74:75]
	v_fma_f64 v[120:121], v[48:49], v[76:77], -v[120:121]
	v_fma_f64 v[76:77], v[50:51], v[76:77], v[78:79]
	v_mul_f64 v[74:75], v[44:45], v[74:75]
	global_load_dwordx4 v[48:51], v107, s[12:13] offset:32
	v_fma_f64 v[78:79], v[44:45], v[72:73], -v[122:123]
	v_fma_f64 v[72:73], v[46:47], v[72:73], v[74:75]
	global_load_dwordx4 v[44:47], v107, s[12:13] offset:48
	s_waitcnt vmcnt(0) lgkmcnt(0)
	s_barrier
	v_mul_f64 v[122:123], v[38:39], v[66:67]
	v_mul_f64 v[74:75], v[42:43], v[70:71]
	;; [unrolled: 1-line block ×3, first 2 shown]
	v_fma_f64 v[126:127], v[40:41], v[68:69], -v[74:75]
	v_fma_f64 v[68:69], v[42:43], v[68:69], v[70:71]
	v_mul_f64 v[40:41], v[36:37], v[66:67]
	v_mul_f64 v[42:43], v[8:9], v[54:55]
	;; [unrolled: 1-line block ×4, first 2 shown]
	v_fma_f64 v[70:71], v[36:37], v[64:65], -v[122:123]
	v_mul_f64 v[36:37], v[28:29], v[60:61]
	v_add_f64 v[60:61], v[110:111], v[62:63]
	v_fma_f64 v[122:123], v[38:39], v[64:65], v[40:41]
	v_fma_f64 v[6:7], v[6:7], v[52:53], -v[42:43]
	v_add_f64 v[40:41], v[24:25], v[4:5]
	v_add_f64 v[42:43], v[82:83], v[97:98]
	v_fma_f64 v[8:9], v[8:9], v[52:53], v[54:55]
	v_fma_f64 v[128:129], v[28:29], v[58:59], -v[66:67]
	v_fma_f64 v[130:131], v[30:31], v[58:59], v[36:37]
	v_add_f64 v[28:29], v[18:19], -v[103:104]
	v_add_f64 v[54:55], v[105:106], -v[112:113]
	;; [unrolled: 1-line block ×3, first 2 shown]
	v_add_f64 v[30:31], v[40:41], v[82:83]
	v_fma_f64 v[36:37], v[42:43], -0.5, v[24:25]
	v_add_f64 v[40:41], v[101:102], -v[97:98]
	v_fma_f64 v[60:61], v[60:61], -0.5, v[16:17]
	v_add_f64 v[64:65], v[112:113], -v[124:125]
	v_add_f64 v[66:67], v[118:119], -v[62:63]
	v_add_f64 v[54:55], v[54:55], v[58:59]
	v_add_f64 v[30:31], v[30:31], v[97:98]
	v_fma_f64 v[42:43], v[28:29], s[6:7], v[36:37]
	v_add_f64 v[58:59], v[114:115], v[118:119]
	v_mul_f64 v[38:39], v[34:35], v[50:51]
	v_mul_f64 v[50:51], v[32:33], v[50:51]
	v_mul_f64 v[52:53], v[22:23], v[46:47]
	v_mul_f64 v[46:47], v[20:21], v[46:47]
	v_fma_f64 v[132:133], v[32:33], v[48:49], -v[38:39]
	v_add_f64 v[38:39], v[4:5], v[101:102]
	v_fma_f64 v[134:135], v[34:35], v[48:49], v[50:51]
	v_add_f64 v[32:33], v[95:96], -v[99:100]
	v_add_f64 v[34:35], v[4:5], -v[82:83]
	v_add_f64 v[48:49], v[14:15], v[112:113]
	v_fma_f64 v[136:137], v[20:21], v[44:45], -v[52:53]
	v_fma_f64 v[138:139], v[22:23], v[44:45], v[46:47]
	v_add_f64 v[20:21], v[30:31], v[101:102]
	v_fma_f64 v[22:23], v[38:39], -0.5, v[24:25]
	v_fma_f64 v[30:31], v[28:29], s[14:15], v[36:37]
	v_fma_f64 v[24:25], v[32:33], s[4:5], v[42:43]
	v_add_f64 v[34:35], v[34:35], v[40:41]
	v_add_f64 v[36:37], v[26:27], v[18:19]
	v_add_f64 v[40:41], v[82:83], -v[4:5]
	v_add_f64 v[42:43], v[97:98], -v[101:102]
	v_add_f64 v[44:45], v[95:96], v[99:100]
	v_fma_f64 v[38:39], v[32:33], s[14:15], v[22:23]
	v_fma_f64 v[22:23], v[32:33], s[6:7], v[22:23]
	;; [unrolled: 1-line block ×3, first 2 shown]
	v_add_f64 v[4:5], v[4:5], -v[101:102]
	v_add_f64 v[36:37], v[36:37], v[95:96]
	v_fma_f64 v[24:25], v[34:35], s[8:9], v[24:25]
	v_add_f64 v[46:47], v[99:100], -v[103:104]
	v_add_f64 v[50:51], v[105:106], v[116:117]
	v_fma_f64 v[32:33], v[28:29], s[4:5], v[38:39]
	v_add_f64 v[38:39], v[40:41], v[42:43]
	v_add_f64 v[40:41], v[18:19], v[103:104]
	v_fma_f64 v[22:23], v[28:29], s[16:17], v[22:23]
	v_fma_f64 v[42:43], v[44:45], -0.5, v[26:27]
	v_add_f64 v[44:45], v[36:37], v[99:100]
	v_fma_f64 v[28:29], v[34:35], s[8:9], v[30:31]
	v_add_f64 v[30:31], v[82:83], -v[97:98]
	v_add_f64 v[82:83], v[110:111], -v[114:115]
	v_fma_f64 v[32:33], v[38:39], s[8:9], v[32:33]
	v_fma_f64 v[26:27], v[40:41], -0.5, v[26:27]
	v_fma_f64 v[36:37], v[38:39], s[8:9], v[22:23]
	v_fma_f64 v[34:35], v[4:5], s[14:15], v[42:43]
	v_add_f64 v[22:23], v[44:45], v[103:104]
	v_add_f64 v[38:39], v[18:19], -v[95:96]
	v_add_f64 v[40:41], v[103:104], -v[99:100]
	v_fma_f64 v[42:43], v[4:5], s[6:7], v[42:43]
	v_add_f64 v[18:19], v[95:96], -v[18:19]
	v_fma_f64 v[44:45], v[30:31], s[6:7], v[26:27]
	v_fma_f64 v[26:27], v[30:31], s[14:15], v[26:27]
	v_fma_f64 v[34:35], v[30:31], s[16:17], v[34:35]
	v_add_f64 v[95:96], v[78:79], -v[120:121]
	v_add_f64 v[97:98], v[126:127], -v[70:71]
	v_add_f64 v[38:39], v[38:39], v[40:41]
	v_fma_f64 v[30:31], v[30:31], s[4:5], v[42:43]
	v_add_f64 v[18:19], v[18:19], v[46:47]
	v_fma_f64 v[40:41], v[4:5], s[16:17], v[44:45]
	v_fma_f64 v[4:5], v[4:5], s[4:5], v[26:27]
	v_add_f64 v[44:45], v[48:49], v[105:106]
	v_fma_f64 v[46:47], v[50:51], -0.5, v[14:15]
	v_add_f64 v[50:51], v[114:115], -v[118:119]
	v_add_f64 v[42:43], v[112:113], v[124:125]
	v_fma_f64 v[26:27], v[38:39], s[8:9], v[34:35]
	v_fma_f64 v[30:31], v[38:39], s[8:9], v[30:31]
	v_add_f64 v[48:49], v[110:111], -v[62:63]
	v_fma_f64 v[34:35], v[18:19], s[8:9], v[40:41]
	v_fma_f64 v[38:39], v[18:19], s[8:9], v[4:5]
	v_add_f64 v[4:5], v[44:45], v[116:117]
	v_fma_f64 v[18:19], v[50:51], s[6:7], v[46:47]
	v_fma_f64 v[14:15], v[42:43], -0.5, v[14:15]
	v_add_f64 v[42:43], v[112:113], -v[105:106]
	v_add_f64 v[44:45], v[124:125], -v[116:117]
	v_fma_f64 v[46:47], v[50:51], s[14:15], v[46:47]
	v_add_f64 v[99:100], v[12:13], v[76:77]
	v_add_f64 v[101:102], v[72:73], v[68:69]
	;; [unrolled: 1-line block ×3, first 2 shown]
	v_fma_f64 v[4:5], v[48:49], s[4:5], v[18:19]
	v_add_f64 v[18:19], v[16:17], v[114:115]
	v_fma_f64 v[52:53], v[48:49], s[14:15], v[14:15]
	v_add_f64 v[42:43], v[42:43], v[44:45]
	v_fma_f64 v[46:47], v[48:49], s[16:17], v[46:47]
	v_fma_f64 v[14:15], v[48:49], s[6:7], v[14:15]
	v_fma_f64 v[16:17], v[58:59], -0.5, v[16:17]
	v_add_f64 v[95:96], v[95:96], v[97:98]
	v_add_f64 v[97:98], v[99:100], v[72:73]
	;; [unrolled: 1-line block ×3, first 2 shown]
	v_fma_f64 v[52:53], v[50:51], s[4:5], v[52:53]
	v_fma_f64 v[44:45], v[42:43], s[8:9], v[4:5]
	v_add_f64 v[4:5], v[105:106], -v[116:117]
	v_fma_f64 v[48:49], v[42:43], s[8:9], v[46:47]
	v_fma_f64 v[14:15], v[50:51], s[16:17], v[14:15]
	;; [unrolled: 1-line block ×3, first 2 shown]
	v_add_f64 v[50:51], v[114:115], -v[110:111]
	v_add_f64 v[18:19], v[18:19], v[62:63]
	v_fma_f64 v[60:61], v[64:65], s[6:7], v[60:61]
	v_add_f64 v[62:63], v[62:63], -v[118:119]
	v_fma_f64 v[74:75], v[4:5], s[6:7], v[16:17]
	v_fma_f64 v[52:53], v[54:55], s[8:9], v[52:53]
	;; [unrolled: 1-line block ×4, first 2 shown]
	v_add_f64 v[50:51], v[50:51], v[66:67]
	v_add_f64 v[42:43], v[18:19], v[118:119]
	;; [unrolled: 1-line block ×3, first 2 shown]
	v_fma_f64 v[54:55], v[4:5], s[4:5], v[60:61]
	v_fma_f64 v[60:61], v[64:65], s[16:17], v[74:75]
	v_add_f64 v[62:63], v[82:83], v[62:63]
	v_add_f64 v[66:67], v[120:121], v[70:71]
	v_fma_f64 v[4:5], v[4:5], s[14:15], v[16:17]
	v_add_f64 v[16:17], v[10:11], v[120:121]
	v_add_f64 v[82:83], v[76:77], -v[122:123]
	v_fma_f64 v[18:19], v[18:19], -0.5, v[10:11]
	v_fma_f64 v[46:47], v[50:51], s[8:9], v[14:15]
	v_fma_f64 v[50:51], v[50:51], s[8:9], v[54:55]
	v_add_f64 v[14:15], v[72:73], -v[68:69]
	v_fma_f64 v[10:11], v[66:67], -0.5, v[10:11]
	v_fma_f64 v[54:55], v[62:63], s[8:9], v[60:61]
	v_fma_f64 v[4:5], v[64:65], s[4:5], v[4:5]
	v_add_f64 v[16:17], v[16:17], v[78:79]
	v_fma_f64 v[60:61], v[82:83], s[6:7], v[18:19]
	v_add_f64 v[64:65], v[120:121], -v[78:79]
	v_add_f64 v[66:67], v[70:71], -v[126:127]
	v_fma_f64 v[18:19], v[82:83], s[14:15], v[18:19]
	v_fma_f64 v[74:75], v[14:15], s[14:15], v[10:11]
	v_fma_f64 v[99:100], v[101:102], -0.5, v[12:13]
	v_add_f64 v[101:102], v[120:121], -v[70:71]
	v_add_f64 v[16:17], v[16:17], v[126:127]
	v_fma_f64 v[103:104], v[14:15], s[4:5], v[60:61]
	v_fma_f64 v[60:61], v[62:63], s[8:9], v[4:5]
	v_add_f64 v[64:65], v[64:65], v[66:67]
	v_fma_f64 v[18:19], v[14:15], s[16:17], v[18:19]
	v_fma_f64 v[4:5], v[14:15], s[6:7], v[10:11]
	;; [unrolled: 1-line block ×3, first 2 shown]
	v_add_f64 v[10:11], v[97:98], v[68:69]
	v_add_f64 v[62:63], v[16:17], v[70:71]
	v_add_f64 v[16:17], v[78:79], -v[126:127]
	v_add_f64 v[78:79], v[128:129], v[132:133]
	v_fma_f64 v[14:15], v[101:102], s[14:15], v[99:100]
	v_fma_f64 v[70:71], v[64:65], s[8:9], v[18:19]
	v_add_f64 v[18:19], v[76:77], v[122:123]
	v_fma_f64 v[4:5], v[82:83], s[16:17], v[4:5]
	v_add_f64 v[82:83], v[76:77], -v[72:73]
	v_add_f64 v[97:98], v[122:123], -v[68:69]
	v_fma_f64 v[99:100], v[101:102], s[6:7], v[99:100]
	v_add_f64 v[72:73], v[72:73], -v[76:77]
	v_add_f64 v[68:69], v[68:69], -v[122:123]
	v_fma_f64 v[66:67], v[64:65], s[8:9], v[103:104]
	v_fma_f64 v[12:13], v[18:19], -0.5, v[12:13]
	v_fma_f64 v[18:19], v[78:79], -0.5, v[0:1]
	v_add_f64 v[78:79], v[8:9], -v[138:139]
	v_add_f64 v[64:65], v[10:11], v[122:123]
	v_fma_f64 v[10:11], v[16:17], s[16:17], v[14:15]
	v_add_f64 v[14:15], v[0:1], v[6:7]
	v_add_f64 v[82:83], v[82:83], v[97:98]
	v_fma_f64 v[97:98], v[16:17], s[4:5], v[99:100]
	v_fma_f64 v[76:77], v[16:17], s[6:7], v[12:13]
	;; [unrolled: 1-line block ×4, first 2 shown]
	v_add_f64 v[99:100], v[130:131], -v[134:135]
	v_add_f64 v[103:104], v[6:7], -v[128:129]
	;; [unrolled: 1-line block ×3, first 2 shown]
	v_add_f64 v[110:111], v[72:73], v[68:69]
	v_add_f64 v[72:73], v[6:7], v[136:137]
	v_fma_f64 v[74:75], v[95:96], s[8:9], v[74:75]
	v_add_f64 v[14:15], v[14:15], v[128:129]
	v_fma_f64 v[95:96], v[95:96], s[8:9], v[4:5]
	v_fma_f64 v[4:5], v[101:102], s[16:17], v[76:77]
	;; [unrolled: 1-line block ×4, first 2 shown]
	v_add_f64 v[101:102], v[103:104], v[105:106]
	v_fma_f64 v[68:69], v[82:83], s[8:9], v[10:11]
	v_fma_f64 v[10:11], v[72:73], -0.5, v[0:1]
	v_add_f64 v[14:15], v[14:15], v[132:133]
	v_fma_f64 v[72:73], v[82:83], s[8:9], v[97:98]
	v_fma_f64 v[76:77], v[110:111], s[8:9], v[4:5]
	;; [unrolled: 1-line block ×3, first 2 shown]
	v_add_f64 v[12:13], v[130:131], v[134:135]
	v_fma_f64 v[4:5], v[101:102], s[8:9], v[16:17]
	v_add_f64 v[82:83], v[8:9], v[138:139]
	v_fma_f64 v[16:17], v[99:100], s[14:15], v[10:11]
	;; [unrolled: 2-line block ×3, first 2 shown]
	v_add_f64 v[18:19], v[128:129], -v[6:7]
	v_add_f64 v[103:104], v[132:133], -v[136:137]
	v_add_f64 v[105:106], v[2:3], v[8:9]
	v_fma_f64 v[12:13], v[12:13], -0.5, v[2:3]
	v_add_f64 v[6:7], v[6:7], -v[136:137]
	v_fma_f64 v[110:111], v[78:79], s[4:5], v[16:17]
	v_add_f64 v[16:17], v[128:129], -v[132:133]
	v_fma_f64 v[2:3], v[82:83], -0.5, v[2:3]
	v_fma_f64 v[14:15], v[99:100], s[16:17], v[14:15]
	v_add_f64 v[18:19], v[18:19], v[103:104]
	v_fma_f64 v[10:11], v[99:100], s[6:7], v[10:11]
	v_add_f64 v[82:83], v[105:106], v[130:131]
	v_fma_f64 v[99:100], v[6:7], s[14:15], v[12:13]
	v_add_f64 v[103:104], v[8:9], -v[130:131]
	v_add_f64 v[105:106], v[138:139], -v[134:135]
	v_fma_f64 v[12:13], v[6:7], s[6:7], v[12:13]
	v_fma_f64 v[112:113], v[16:17], s[6:7], v[2:3]
	v_add_f64 v[8:9], v[130:131], -v[8:9]
	v_add_f64 v[114:115], v[134:135], -v[138:139]
	v_fma_f64 v[2:3], v[16:17], s[14:15], v[2:3]
	v_fma_f64 v[10:11], v[78:79], s[16:17], v[10:11]
	v_add_f64 v[78:79], v[82:83], v[134:135]
	v_fma_f64 v[82:83], v[16:17], s[16:17], v[99:100]
	v_add_f64 v[99:100], v[103:104], v[105:106]
	v_fma_f64 v[103:104], v[16:17], s[4:5], v[12:13]
	v_fma_f64 v[105:106], v[6:7], s[16:17], v[112:113]
	v_add_f64 v[112:113], v[8:9], v[114:115]
	v_fma_f64 v[114:115], v[6:7], s[4:5], v[2:3]
	v_fma_f64 v[16:17], v[101:102], s[8:9], v[14:15]
	v_fma_f64 v[8:9], v[18:19], s[8:9], v[110:111]
	v_fma_f64 v[12:13], v[18:19], s[8:9], v[10:11]
	v_add_f64 v[2:3], v[78:79], v[138:139]
	v_fma_f64 v[6:7], v[99:100], s[8:9], v[82:83]
	v_fma_f64 v[18:19], v[99:100], s[8:9], v[103:104]
	;; [unrolled: 1-line block ×4, first 2 shown]
	v_mov_b32_e32 v79, 4
	v_mul_u32_u24_e32 v78, 0x190, v85
	v_lshlrev_b32_sdwa v82, v79, v86 dst_sel:DWORD dst_unused:UNUSED_PAD src0_sel:DWORD src1_sel:BYTE_0
	v_add3_u32 v78, 0, v78, v82
	ds_write_b128 v78, v[20:23]
	ds_write_b128 v78, v[24:27] offset:80
	ds_write_b128 v78, v[32:35] offset:160
	;; [unrolled: 1-line block ×4, first 2 shown]
	v_mul_u32_u24_e32 v20, 0x190, v87
	v_lshlrev_b32_sdwa v21, v79, v94 dst_sel:DWORD dst_unused:UNUSED_PAD src0_sel:DWORD src1_sel:BYTE_0
	v_add3_u32 v20, 0, v20, v21
	ds_write_b128 v20, v[40:43]
	ds_write_b128 v20, v[44:47] offset:80
	ds_write_b128 v20, v[52:55] offset:160
	;; [unrolled: 1-line block ×4, first 2 shown]
	v_mul_u32_u24_e32 v20, 0x190, v80
	v_lshlrev_b32_e32 v21, 4, v81
	v_add3_u32 v20, 0, v20, v21
	ds_write_b128 v20, v[62:65]
	ds_write_b128 v20, v[66:69] offset:80
	ds_write_b128 v20, v[74:77] offset:160
	;; [unrolled: 1-line block ×4, first 2 shown]
	s_and_saveexec_b64 s[4:5], vcc
	s_cbranch_execz .LBB0_25
; %bb.24:
	v_mul_lo_u16_e32 v20, 25, v56
	v_lshlrev_b32_e32 v21, 4, v57
	v_lshlrev_b32_e32 v20, 4, v20
	v_add3_u32 v20, 0, v21, v20
	ds_write_b128 v20, v[0:3]
	ds_write_b128 v20, v[4:7] offset:80
	ds_write_b128 v20, v[8:11] offset:160
	;; [unrolled: 1-line block ×4, first 2 shown]
.LBB0_25:
	s_or_b64 exec, exec, s[4:5]
	s_waitcnt lgkmcnt(0)
	s_barrier
	ds_read_b128 v[38:41], v108
	ds_read_b128 v[24:27], v108 offset:2000
	ds_read_b128 v[70:73], v108 offset:12800
	;; [unrolled: 1-line block ×14, first 2 shown]
	s_and_saveexec_b64 s[4:5], vcc
	s_cbranch_execz .LBB0_27
; %bb.26:
	ds_read_b128 v[0:3], v108 offset:6000
	ds_read_b128 v[4:7], v108 offset:12400
	;; [unrolled: 1-line block ×5, first 2 shown]
.LBB0_27:
	s_or_b64 exec, exec, s[4:5]
	v_mov_b32_e32 v82, 41
	v_mul_lo_u16_sdwa v36, v90, v82 dst_sel:DWORD dst_unused:UNUSED_PAD src0_sel:BYTE_0 src1_sel:DWORD
	v_lshrrev_b16_e32 v110, 10, v36
	v_mul_lo_u16_e32 v36, 25, v110
	v_sub_u16_e32 v111, v90, v36
	v_mov_b32_e32 v83, 6
	v_lshlrev_b32_sdwa v36, v83, v111 dst_sel:DWORD dst_unused:UNUSED_PAD src0_sel:DWORD src1_sel:BYTE_0
	global_load_dwordx4 v[112:115], v36, s[12:13] offset:368
	global_load_dwordx4 v[100:103], v36, s[12:13] offset:352
	global_load_dwordx4 v[116:119], v36, s[12:13] offset:336
	global_load_dwordx4 v[94:97], v36, s[12:13] offset:320
	s_movk_i32 s20, 0x47af
	s_mov_b32 s4, 0x134454ff
	s_mov_b32 s5, 0x3fee6f0e
	;; [unrolled: 1-line block ×8, first 2 shown]
	s_waitcnt vmcnt(0) lgkmcnt(8)
	v_mul_f64 v[36:37], v[80:81], v[96:97]
	v_fma_f64 v[104:105], v[78:79], v[94:95], -v[36:37]
	v_mul_f64 v[36:37], v[78:79], v[96:97]
	v_fma_f64 v[96:97], v[80:81], v[94:95], v[36:37]
	v_mul_f64 v[36:37], v[72:73], v[118:119]
	v_fma_f64 v[106:107], v[70:71], v[116:117], -v[36:37]
	v_mul_f64 v[36:37], v[70:71], v[118:119]
	v_fma_f64 v[98:99], v[72:73], v[116:117], v[36:37]
	s_waitcnt lgkmcnt(4)
	v_mul_f64 v[36:37], v[76:77], v[102:103]
	v_fma_f64 v[116:117], v[74:75], v[100:101], -v[36:37]
	v_mul_f64 v[36:37], v[74:75], v[102:103]
	v_fma_f64 v[100:101], v[76:77], v[100:101], v[36:37]
	v_mul_f64 v[36:37], v[68:69], v[114:115]
	v_fma_f64 v[118:119], v[66:67], v[112:113], -v[36:37]
	v_mul_f64 v[36:37], v[66:67], v[114:115]
	v_fma_f64 v[102:103], v[68:69], v[112:113], v[36:37]
	v_mul_lo_u16_sdwa v36, v84, v82 dst_sel:DWORD dst_unused:UNUSED_PAD src0_sel:BYTE_0 src1_sel:DWORD
	v_lshrrev_b16_e32 v112, 10, v36
	v_mul_lo_u16_e32 v36, 25, v112
	v_sub_u16_e32 v113, v84, v36
	v_lshlrev_b32_sdwa v36, v83, v113 dst_sel:DWORD dst_unused:UNUSED_PAD src0_sel:DWORD src1_sel:BYTE_0
	global_load_dwordx4 v[66:69], v36, s[12:13] offset:368
	global_load_dwordx4 v[70:73], v36, s[12:13] offset:352
	;; [unrolled: 1-line block ×4, first 2 shown]
	s_waitcnt vmcnt(0)
	v_mul_f64 v[36:37], v[64:65], v[80:81]
	v_fma_f64 v[86:87], v[62:63], v[78:79], -v[36:37]
	v_mul_f64 v[36:37], v[62:63], v[80:81]
	v_fma_f64 v[78:79], v[64:65], v[78:79], v[36:37]
	v_mul_f64 v[36:37], v[56:57], v[76:77]
	v_fma_f64 v[94:95], v[54:55], v[74:75], -v[36:37]
	v_mul_f64 v[36:37], v[54:55], v[76:77]
	v_add_f64 v[54:55], v[100:101], -v[102:103]
	v_fma_f64 v[80:81], v[56:57], v[74:75], v[36:37]
	s_waitcnt lgkmcnt(2)
	v_mul_f64 v[36:37], v[60:61], v[72:73]
	v_fma_f64 v[56:57], v[58:59], v[70:71], -v[36:37]
	v_mul_f64 v[36:37], v[58:59], v[72:73]
	v_add_f64 v[58:59], v[86:87], -v[94:95]
	v_fma_f64 v[82:83], v[60:61], v[70:71], v[36:37]
	v_mul_f64 v[36:37], v[52:53], v[68:69]
	v_fma_f64 v[60:61], v[50:51], v[66:67], -v[36:37]
	v_mul_f64 v[36:37], v[50:51], v[68:69]
	v_fma_f64 v[84:85], v[52:53], v[66:67], v[36:37]
	v_mul_u32_u24_sdwa v36, v109, s20 dst_sel:DWORD dst_unused:UNUSED_PAD src0_sel:WORD_0 src1_sel:DWORD
	v_sub_u16_sdwa v37, v109, v36 dst_sel:DWORD dst_unused:UNUSED_PAD src0_sel:DWORD src1_sel:WORD_1
	v_lshrrev_b16_e32 v37, 1, v37
	v_add_u16_sdwa v36, v37, v36 dst_sel:DWORD dst_unused:UNUSED_PAD src0_sel:DWORD src1_sel:WORD_1
	v_lshrrev_b16_e32 v114, 4, v36
	v_mul_lo_u16_e32 v36, 25, v114
	v_sub_u16_e32 v109, v109, v36
	v_lshlrev_b32_e32 v36, 6, v109
	global_load_dwordx4 v[50:53], v36, s[12:13] offset:368
	global_load_dwordx4 v[66:69], v36, s[12:13] offset:352
	;; [unrolled: 1-line block ×4, first 2 shown]
	s_waitcnt vmcnt(0) lgkmcnt(0)
	s_barrier
	v_mul_f64 v[36:37], v[48:49], v[64:65]
	v_fma_f64 v[70:71], v[46:47], v[62:63], -v[36:37]
	v_mul_f64 v[36:37], v[46:47], v[64:65]
	v_add_f64 v[46:47], v[116:117], -v[118:119]
	v_fma_f64 v[62:63], v[48:49], v[62:63], v[36:37]
	v_mul_f64 v[36:37], v[44:45], v[76:77]
	v_add_f64 v[48:49], v[96:97], -v[98:99]
	v_fma_f64 v[72:73], v[42:43], v[74:75], -v[36:37]
	v_mul_f64 v[36:37], v[42:43], v[76:77]
	v_add_f64 v[42:43], v[98:99], -v[100:101]
	v_fma_f64 v[64:65], v[44:45], v[74:75], v[36:37]
	v_mul_f64 v[36:37], v[34:35], v[68:69]
	v_add_f64 v[44:45], v[118:119], -v[116:117]
	;; [unrolled: 6-line block ×3, first 2 shown]
	v_add_f64 v[36:37], v[36:37], v[44:45]
	v_add_f64 v[44:45], v[106:107], -v[104:105]
	v_fma_f64 v[76:77], v[28:29], v[50:51], -v[32:33]
	v_mul_f64 v[28:29], v[28:29], v[52:53]
	v_add_f64 v[52:53], v[102:103], -v[100:101]
	v_add_f64 v[44:45], v[44:45], v[46:47]
	v_fma_f64 v[68:69], v[30:31], v[50:51], v[28:29]
	v_add_f64 v[30:31], v[106:107], v[116:117]
	v_add_f64 v[28:29], v[38:39], v[104:105]
	v_add_f64 v[50:51], v[106:107], -v[116:117]
	v_add_f64 v[48:49], v[48:49], v[52:53]
	v_add_f64 v[52:53], v[98:99], -v[96:97]
	v_fma_f64 v[30:31], v[30:31], -0.5, v[38:39]
	v_add_f64 v[28:29], v[28:29], v[106:107]
	v_add_f64 v[52:53], v[52:53], v[54:55]
	v_fma_f64 v[32:33], v[34:35], s[4:5], v[30:31]
	v_fma_f64 v[30:31], v[34:35], s[16:17], v[30:31]
	v_add_f64 v[28:29], v[28:29], v[116:117]
	v_fma_f64 v[32:33], v[42:43], s[6:7], v[32:33]
	v_fma_f64 v[30:31], v[42:43], s[14:15], v[30:31]
	;; [unrolled: 3-line block ×3, first 2 shown]
	v_add_f64 v[30:31], v[104:105], v[118:119]
	v_fma_f64 v[30:31], v[30:31], -0.5, v[38:39]
	v_fma_f64 v[38:39], v[42:43], s[16:17], v[30:31]
	v_fma_f64 v[30:31], v[42:43], s[4:5], v[30:31]
	;; [unrolled: 1-line block ×4, first 2 shown]
	v_add_f64 v[34:35], v[98:99], v[100:101]
	v_fma_f64 v[46:47], v[44:45], s[8:9], v[38:39]
	v_fma_f64 v[42:43], v[44:45], s[8:9], v[30:31]
	v_fma_f64 v[38:39], v[34:35], -0.5, v[40:41]
	v_add_f64 v[44:45], v[104:105], -v[118:119]
	v_add_f64 v[30:31], v[40:41], v[96:97]
	v_fma_f64 v[34:35], v[44:45], s[16:17], v[38:39]
	v_fma_f64 v[38:39], v[44:45], s[4:5], v[38:39]
	v_add_f64 v[30:31], v[30:31], v[98:99]
	v_add_f64 v[98:99], v[60:61], -v[56:57]
	v_fma_f64 v[34:35], v[50:51], s[14:15], v[34:35]
	v_fma_f64 v[38:39], v[50:51], s[6:7], v[38:39]
	v_add_f64 v[30:31], v[30:31], v[100:101]
	v_add_f64 v[98:99], v[58:59], v[98:99]
	v_add_f64 v[100:101], v[56:57], -v[60:61]
	v_fma_f64 v[34:35], v[48:49], s[8:9], v[34:35]
	v_fma_f64 v[38:39], v[48:49], s[8:9], v[38:39]
	v_add_f64 v[48:49], v[96:97], v[102:103]
	v_add_f64 v[96:97], v[80:81], -v[82:83]
	v_add_f64 v[30:31], v[30:31], v[102:103]
	v_fma_f64 v[40:41], v[48:49], -0.5, v[40:41]
	v_fma_f64 v[48:49], v[50:51], s[4:5], v[40:41]
	v_fma_f64 v[40:41], v[50:51], s[16:17], v[40:41]
	;; [unrolled: 1-line block ×6, first 2 shown]
	v_add_f64 v[40:41], v[24:25], v[86:87]
	v_add_f64 v[52:53], v[78:79], -v[84:85]
	v_add_f64 v[40:41], v[40:41], v[94:95]
	v_add_f64 v[40:41], v[40:41], v[56:57]
	;; [unrolled: 1-line block ×4, first 2 shown]
	v_fma_f64 v[40:41], v[40:41], -0.5, v[24:25]
	v_fma_f64 v[54:55], v[52:53], s[4:5], v[40:41]
	v_fma_f64 v[40:41], v[52:53], s[16:17], v[40:41]
	;; [unrolled: 1-line block ×6, first 2 shown]
	v_add_f64 v[40:41], v[86:87], v[60:61]
	v_add_f64 v[98:99], v[94:95], -v[86:87]
	v_add_f64 v[86:87], v[86:87], -v[60:61]
	;; [unrolled: 1-line block ×3, first 2 shown]
	v_fma_f64 v[40:41], v[40:41], -0.5, v[24:25]
	v_add_f64 v[98:99], v[98:99], v[100:101]
	v_fma_f64 v[24:25], v[96:97], s[16:17], v[40:41]
	v_fma_f64 v[40:41], v[96:97], s[4:5], v[40:41]
	;; [unrolled: 1-line block ×6, first 2 shown]
	v_add_f64 v[40:41], v[26:27], v[78:79]
	v_add_f64 v[98:99], v[84:85], -v[82:83]
	v_add_f64 v[40:41], v[40:41], v[80:81]
	v_add_f64 v[40:41], v[40:41], v[82:83]
	;; [unrolled: 1-line block ×4, first 2 shown]
	v_fma_f64 v[40:41], v[40:41], -0.5, v[26:27]
	v_fma_f64 v[60:61], v[86:87], s[16:17], v[40:41]
	v_fma_f64 v[40:41], v[86:87], s[4:5], v[40:41]
	;; [unrolled: 1-line block ×3, first 2 shown]
	v_add_f64 v[60:61], v[78:79], -v[80:81]
	v_fma_f64 v[40:41], v[94:95], s[6:7], v[40:41]
	v_add_f64 v[98:99], v[60:61], v[98:99]
	v_fma_f64 v[60:61], v[98:99], s[8:9], v[56:57]
	v_fma_f64 v[56:57], v[98:99], s[8:9], v[40:41]
	v_add_f64 v[40:41], v[78:79], v[84:85]
	v_add_f64 v[78:79], v[80:81], -v[78:79]
	v_add_f64 v[80:81], v[82:83], -v[84:85]
	;; [unrolled: 1-line block ×3, first 2 shown]
	v_fma_f64 v[40:41], v[40:41], -0.5, v[26:27]
	v_add_f64 v[78:79], v[78:79], v[80:81]
	v_add_f64 v[80:81], v[62:63], -v[68:69]
	v_fma_f64 v[26:27], v[94:95], s[4:5], v[40:41]
	v_fma_f64 v[40:41], v[94:95], s[16:17], v[40:41]
	v_add_f64 v[94:95], v[76:77], -v[74:75]
	v_fma_f64 v[26:27], v[86:87], s[14:15], v[26:27]
	v_fma_f64 v[40:41], v[86:87], s[6:7], v[40:41]
	;; [unrolled: 3-line block ×3, first 2 shown]
	v_add_f64 v[40:41], v[20:21], v[70:71]
	v_add_f64 v[86:87], v[86:87], v[94:95]
	v_add_f64 v[94:95], v[74:75], -v[76:77]
	v_add_f64 v[40:41], v[40:41], v[72:73]
	v_add_f64 v[40:41], v[40:41], v[74:75]
	;; [unrolled: 1-line block ×4, first 2 shown]
	v_fma_f64 v[40:41], v[40:41], -0.5, v[20:21]
	v_fma_f64 v[82:83], v[80:81], s[4:5], v[40:41]
	v_fma_f64 v[40:41], v[80:81], s[16:17], v[40:41]
	;; [unrolled: 1-line block ×6, first 2 shown]
	v_add_f64 v[40:41], v[70:71], v[76:77]
	v_add_f64 v[86:87], v[72:73], -v[70:71]
	v_add_f64 v[70:71], v[70:71], -v[76:77]
	;; [unrolled: 1-line block ×3, first 2 shown]
	v_fma_f64 v[40:41], v[40:41], -0.5, v[20:21]
	v_add_f64 v[86:87], v[86:87], v[94:95]
	v_fma_f64 v[20:21], v[84:85], s[16:17], v[40:41]
	v_fma_f64 v[40:41], v[84:85], s[4:5], v[40:41]
	v_add_f64 v[84:85], v[68:69], -v[66:67]
	v_fma_f64 v[20:21], v[80:81], s[6:7], v[20:21]
	v_fma_f64 v[40:41], v[80:81], s[14:15], v[40:41]
	;; [unrolled: 1-line block ×4, first 2 shown]
	v_add_f64 v[40:41], v[22:23], v[62:63]
	v_add_f64 v[40:41], v[40:41], v[64:65]
	;; [unrolled: 1-line block ×5, first 2 shown]
	v_fma_f64 v[40:41], v[40:41], -0.5, v[22:23]
	v_fma_f64 v[76:77], v[70:71], s[16:17], v[40:41]
	v_fma_f64 v[40:41], v[70:71], s[4:5], v[40:41]
	;; [unrolled: 1-line block ×3, first 2 shown]
	v_add_f64 v[76:77], v[62:63], -v[64:65]
	v_fma_f64 v[40:41], v[72:73], s[6:7], v[40:41]
	v_add_f64 v[76:77], v[76:77], v[84:85]
	v_fma_f64 v[102:103], v[76:77], s[8:9], v[40:41]
	v_add_f64 v[40:41], v[62:63], v[68:69]
	v_add_f64 v[62:63], v[64:65], -v[62:63]
	v_add_f64 v[64:65], v[66:67], -v[68:69]
	v_fma_f64 v[84:85], v[76:77], s[8:9], v[74:75]
	v_fma_f64 v[40:41], v[40:41], -0.5, v[22:23]
	v_add_f64 v[62:63], v[62:63], v[64:65]
	v_fma_f64 v[22:23], v[72:73], s[4:5], v[40:41]
	v_fma_f64 v[40:41], v[72:73], s[16:17], v[40:41]
	;; [unrolled: 1-line block ×6, first 2 shown]
	v_mov_b32_e32 v41, 4
	v_mul_u32_u24_e32 v40, 0x7d0, v110
	v_lshlrev_b32_sdwa v62, v41, v111 dst_sel:DWORD dst_unused:UNUSED_PAD src0_sel:DWORD src1_sel:BYTE_0
	v_add3_u32 v40, 0, v40, v62
	ds_write_b128 v40, v[28:31]
	ds_write_b128 v40, v[32:35] offset:400
	ds_write_b128 v40, v[46:49] offset:800
	;; [unrolled: 1-line block ×4, first 2 shown]
	v_mul_u32_u24_e32 v28, 0x7d0, v112
	v_lshlrev_b32_sdwa v29, v41, v113 dst_sel:DWORD dst_unused:UNUSED_PAD src0_sel:DWORD src1_sel:BYTE_0
	v_add3_u32 v28, 0, v28, v29
	ds_write_b128 v28, v[50:53]
	ds_write_b128 v28, v[58:61] offset:400
	ds_write_b128 v28, v[24:27] offset:800
	;; [unrolled: 1-line block ×4, first 2 shown]
	v_mul_u32_u24_e32 v24, 0x7d0, v114
	v_lshlrev_b32_e32 v25, 4, v109
	v_add3_u32 v24, 0, v24, v25
	ds_write_b128 v24, v[78:81]
	ds_write_b128 v24, v[82:85] offset:400
	ds_write_b128 v24, v[20:23] offset:800
	;; [unrolled: 1-line block ×4, first 2 shown]
	s_and_saveexec_b64 s[18:19], vcc
	s_cbranch_execz .LBB0_29
; %bb.28:
	v_mul_u32_u24_sdwa v20, v91, s20 dst_sel:DWORD dst_unused:UNUSED_PAD src0_sel:WORD_0 src1_sel:DWORD
	v_sub_u16_sdwa v21, v91, v20 dst_sel:DWORD dst_unused:UNUSED_PAD src0_sel:DWORD src1_sel:WORD_1
	v_lshrrev_b16_e32 v21, 1, v21
	v_add_u16_sdwa v20, v21, v20 dst_sel:DWORD dst_unused:UNUSED_PAD src0_sel:DWORD src1_sel:WORD_1
	v_lshrrev_b16_e32 v20, 4, v20
	v_mul_lo_u16_e32 v20, 25, v20
	v_sub_u16_e32 v52, v91, v20
	v_lshlrev_b32_e32 v36, 6, v52
	global_load_dwordx4 v[20:23], v36, s[12:13] offset:336
	global_load_dwordx4 v[24:27], v36, s[12:13] offset:320
	;; [unrolled: 1-line block ×4, first 2 shown]
	s_waitcnt vmcnt(3)
	v_mul_f64 v[36:37], v[8:9], v[22:23]
	s_waitcnt vmcnt(2)
	v_mul_f64 v[38:39], v[4:5], v[26:27]
	;; [unrolled: 2-line block ×4, first 2 shown]
	v_mul_f64 v[26:27], v[6:7], v[26:27]
	v_mul_f64 v[34:35], v[18:19], v[34:35]
	;; [unrolled: 1-line block ×4, first 2 shown]
	v_fma_f64 v[10:11], v[10:11], v[20:21], v[36:37]
	v_fma_f64 v[6:7], v[6:7], v[24:25], v[38:39]
	;; [unrolled: 1-line block ×4, first 2 shown]
	v_fma_f64 v[4:5], v[4:5], v[24:25], -v[26:27]
	v_fma_f64 v[16:17], v[16:17], v[32:33], -v[34:35]
	;; [unrolled: 1-line block ×4, first 2 shown]
	v_add_f64 v[20:21], v[10:11], -v[6:7]
	v_add_f64 v[30:31], v[6:7], -v[10:11]
	;; [unrolled: 1-line block ×3, first 2 shown]
	v_add_f64 v[26:27], v[6:7], v[18:19]
	v_add_f64 v[32:33], v[18:19], -v[14:15]
	v_add_f64 v[34:35], v[10:11], v[14:15]
	v_add_f64 v[44:45], v[4:5], v[16:17]
	;; [unrolled: 1-line block ×4, first 2 shown]
	v_add_f64 v[24:25], v[4:5], -v[16:17]
	v_add_f64 v[38:39], v[8:9], -v[4:5]
	;; [unrolled: 1-line block ×3, first 2 shown]
	v_add_f64 v[4:5], v[0:1], v[4:5]
	v_add_f64 v[28:29], v[8:9], -v[12:13]
	v_add_f64 v[40:41], v[12:13], -v[16:17]
	;; [unrolled: 1-line block ×3, first 2 shown]
	v_add_f64 v[20:21], v[20:21], v[22:23]
	v_fma_f64 v[22:23], v[26:27], -0.5, v[2:3]
	v_add_f64 v[26:27], v[30:31], v[32:33]
	v_fma_f64 v[2:3], v[34:35], -0.5, v[2:3]
	v_fma_f64 v[32:33], v[44:45], -0.5, v[0:1]
	;; [unrolled: 1-line block ×3, first 2 shown]
	v_add_f64 v[42:43], v[10:11], -v[14:15]
	v_add_f64 v[10:11], v[36:37], v[10:11]
	v_add_f64 v[4:5], v[4:5], v[8:9]
	v_add_f64 v[48:49], v[16:17], -v[12:13]
	v_add_f64 v[30:31], v[38:39], v[40:41]
	v_fma_f64 v[8:9], v[28:29], s[16:17], v[22:23]
	v_fma_f64 v[22:23], v[28:29], s[4:5], v[22:23]
	;; [unrolled: 1-line block ×6, first 2 shown]
	v_add_f64 v[10:11], v[10:11], v[14:15]
	v_fma_f64 v[14:15], v[42:43], s[4:5], v[32:33]
	v_fma_f64 v[32:33], v[42:43], s[16:17], v[32:33]
	v_add_f64 v[4:5], v[4:5], v[12:13]
	v_add_f64 v[34:35], v[46:47], v[48:49]
	v_fma_f64 v[8:9], v[24:25], s[6:7], v[8:9]
	v_fma_f64 v[12:13], v[24:25], s[14:15], v[22:23]
	;; [unrolled: 1-line block ×8, first 2 shown]
	v_add_f64 v[2:3], v[10:11], v[18:19]
	v_add_f64 v[0:1], v[4:5], v[16:17]
	v_fma_f64 v[6:7], v[20:21], s[8:9], v[8:9]
	v_fma_f64 v[18:19], v[26:27], s[8:9], v[24:25]
	;; [unrolled: 1-line block ×8, first 2 shown]
	v_lshl_add_u32 v20, v52, 4, 0
	ds_write_b128 v20, v[0:3] offset:30000
	ds_write_b128 v20, v[16:19] offset:30400
	ds_write_b128 v20, v[8:11] offset:30800
	ds_write_b128 v20, v[4:7] offset:31200
	ds_write_b128 v20, v[12:15] offset:31600
.LBB0_29:
	s_or_b64 exec, exec, s[18:19]
	v_mul_u32_u24_e32 v0, 15, v90
	v_lshlrev_b32_e32 v60, 4, v0
	s_waitcnt lgkmcnt(0)
	s_barrier
	global_load_dwordx4 v[0:3], v60, s[12:13] offset:1920
	global_load_dwordx4 v[4:7], v60, s[12:13] offset:1936
	;; [unrolled: 1-line block ×15, first 2 shown]
	ds_read_b128 v[60:63], v108
	ds_read_b128 v[64:67], v108 offset:2000
	ds_read_b128 v[68:71], v108 offset:4000
	ds_read_b128 v[72:75], v108 offset:6000
	ds_read_b128 v[76:79], v108 offset:8000
	ds_read_b128 v[80:83], v108 offset:10000
	ds_read_b128 v[84:87], v108 offset:12000
	ds_read_b128 v[94:97], v108 offset:14000
	ds_read_b128 v[98:101], v108 offset:16000
	ds_read_b128 v[102:105], v108 offset:18000
	ds_read_b128 v[109:112], v108 offset:20000
	ds_read_b128 v[113:116], v108 offset:22000
	s_mov_b32 s4, 0x667f3bcd
	s_mov_b32 s5, 0xbfe6a09e
	;; [unrolled: 1-line block ×12, first 2 shown]
	s_waitcnt vmcnt(14) lgkmcnt(10)
	v_mul_f64 v[106:107], v[66:67], v[2:3]
	s_waitcnt vmcnt(13) lgkmcnt(9)
	v_mul_f64 v[117:118], v[70:71], v[6:7]
	;; [unrolled: 2-line block ×3, first 2 shown]
	v_mul_f64 v[6:7], v[68:69], v[6:7]
	v_mul_f64 v[10:11], v[72:73], v[10:11]
	;; [unrolled: 1-line block ×3, first 2 shown]
	v_fma_f64 v[106:107], v[64:65], v[0:1], -v[106:107]
	v_fma_f64 v[68:69], v[68:69], v[4:5], -v[117:118]
	s_waitcnt vmcnt(11) lgkmcnt(7)
	v_mul_f64 v[117:118], v[78:79], v[14:15]
	v_mul_f64 v[14:15], v[76:77], v[14:15]
	v_fma_f64 v[72:73], v[72:73], v[8:9], -v[119:120]
	s_waitcnt vmcnt(10) lgkmcnt(6)
	v_mul_f64 v[119:120], v[82:83], v[18:19]
	v_mul_f64 v[18:19], v[80:81], v[18:19]
	v_fma_f64 v[121:122], v[66:67], v[0:1], v[2:3]
	ds_read_b128 v[0:3], v108 offset:24000
	ds_read_b128 v[64:67], v108 offset:26000
	v_fma_f64 v[70:71], v[70:71], v[4:5], v[6:7]
	v_fma_f64 v[76:77], v[76:77], v[12:13], -v[117:118]
	v_fma_f64 v[12:13], v[78:79], v[12:13], v[14:15]
	s_waitcnt vmcnt(9) lgkmcnt(7)
	v_mul_f64 v[14:15], v[86:87], v[22:23]
	v_mul_f64 v[22:23], v[84:85], v[22:23]
	s_waitcnt vmcnt(8) lgkmcnt(6)
	v_mul_f64 v[78:79], v[96:97], v[26:27]
	v_mul_f64 v[26:27], v[94:95], v[26:27]
	v_fma_f64 v[80:81], v[80:81], v[16:17], -v[119:120]
	v_fma_f64 v[16:17], v[82:83], v[16:17], v[18:19]
	s_waitcnt vmcnt(7) lgkmcnt(5)
	v_mul_f64 v[18:19], v[100:101], v[30:31]
	v_mul_f64 v[30:31], v[98:99], v[30:31]
	v_fma_f64 v[74:75], v[74:75], v[8:9], v[10:11]
	ds_read_b128 v[4:7], v108 offset:28000
	ds_read_b128 v[8:11], v108 offset:30000
	s_waitcnt vmcnt(6) lgkmcnt(6)
	v_mul_f64 v[82:83], v[104:105], v[34:35]
	v_mul_f64 v[34:35], v[102:103], v[34:35]
	v_fma_f64 v[14:15], v[84:85], v[20:21], -v[14:15]
	v_fma_f64 v[20:21], v[86:87], v[20:21], v[22:23]
	s_waitcnt vmcnt(5) lgkmcnt(5)
	v_mul_f64 v[22:23], v[111:112], v[38:39]
	v_mul_f64 v[38:39], v[109:110], v[38:39]
	v_fma_f64 v[78:79], v[94:95], v[24:25], -v[78:79]
	v_fma_f64 v[24:25], v[96:97], v[24:25], v[26:27]
	;; [unrolled: 5-line block ×4, first 2 shown]
	v_fma_f64 v[22:23], v[109:110], v[36:37], -v[22:23]
	v_fma_f64 v[34:35], v[111:112], v[36:37], v[38:39]
	v_fma_f64 v[0:1], v[0:1], v[44:45], -v[26:27]
	v_fma_f64 v[2:3], v[2:3], v[44:45], v[46:47]
	;; [unrolled: 2-line block ×3, first 2 shown]
	v_mul_f64 v[84:85], v[115:116], v[42:43]
	v_mul_f64 v[42:43], v[113:114], v[42:43]
	;; [unrolled: 1-line block ×4, first 2 shown]
	s_waitcnt vmcnt(0) lgkmcnt(0)
	v_mul_f64 v[94:95], v[10:11], v[58:59]
	v_mul_f64 v[58:59], v[8:9], v[58:59]
	v_add_f64 v[18:19], v[60:61], -v[18:19]
	v_add_f64 v[28:29], v[62:63], -v[28:29]
	;; [unrolled: 1-line block ×8, first 2 shown]
	v_fma_f64 v[36:37], v[113:114], v[40:41], -v[84:85]
	v_fma_f64 v[38:39], v[115:116], v[40:41], v[42:43]
	v_fma_f64 v[26:27], v[64:65], v[48:49], -v[86:87]
	v_fma_f64 v[40:41], v[66:67], v[48:49], v[50:51]
	v_fma_f64 v[10:11], v[10:11], v[56:57], v[58:59]
	v_fma_f64 v[34:35], v[60:61], 2.0, -v[18:19]
	v_fma_f64 v[42:43], v[62:63], 2.0, -v[28:29]
	;; [unrolled: 1-line block ×8, first 2 shown]
	v_fma_f64 v[8:9], v[8:9], v[56:57], -v[94:95]
	v_add_f64 v[50:51], v[106:107], -v[82:83]
	v_add_f64 v[40:41], v[16:17], -v[40:41]
	;; [unrolled: 1-line block ×12, first 2 shown]
	v_fma_f64 v[16:17], v[16:17], 2.0, -v[40:41]
	v_fma_f64 v[24:25], v[24:25], 2.0, -v[10:11]
	v_add_f64 v[2:3], v[18:19], -v[2:3]
	v_add_f64 v[0:1], v[28:29], v[0:1]
	v_add_f64 v[6:7], v[22:23], -v[6:7]
	v_add_f64 v[4:5], v[30:31], v[4:5]
	v_fma_f64 v[34:35], v[34:35], 2.0, -v[44:45]
	v_fma_f64 v[42:43], v[42:43], 2.0, -v[12:13]
	v_fma_f64 v[46:47], v[46:47], 2.0, -v[14:15]
	v_fma_f64 v[48:49], v[48:49], 2.0, -v[20:21]
	v_add_f64 v[40:41], v[50:51], -v[40:41]
	v_add_f64 v[10:11], v[36:37], -v[10:11]
	v_fma_f64 v[52:53], v[106:107], 2.0, -v[50:51]
	v_fma_f64 v[56:57], v[80:81], 2.0, -v[26:27]
	;; [unrolled: 1-line block ×6, first 2 shown]
	v_add_f64 v[26:27], v[32:33], v[26:27]
	v_add_f64 v[8:9], v[38:39], v[8:9]
	v_fma_f64 v[50:51], v[50:51], 2.0, -v[40:41]
	v_fma_f64 v[36:37], v[36:37], 2.0, -v[10:11]
	v_add_f64 v[68:69], v[34:35], -v[46:47]
	v_add_f64 v[70:71], v[42:43], -v[48:49]
	v_fma_f64 v[46:47], v[6:7], s[6:7], v[2:3]
	v_fma_f64 v[48:49], v[4:5], s[6:7], v[0:1]
	v_fma_f64 v[54:55], v[121:122], 2.0, -v[32:33]
	v_fma_f64 v[60:61], v[74:75], 2.0, -v[38:39]
	;; [unrolled: 1-line block ×6, first 2 shown]
	v_fma_f64 v[64:65], v[22:23], s[4:5], v[18:19]
	v_add_f64 v[72:73], v[44:45], -v[20:21]
	v_fma_f64 v[76:77], v[4:5], s[4:5], v[46:47]
	v_fma_f64 v[78:79], v[6:7], s[6:7], v[48:49]
	;; [unrolled: 1-line block ×3, first 2 shown]
	v_add_f64 v[56:57], v[52:53], -v[56:57]
	v_add_f64 v[16:17], v[54:55], -v[16:17]
	v_add_f64 v[62:63], v[58:59], -v[62:63]
	v_add_f64 v[24:25], v[60:61], -v[24:25]
	v_fma_f64 v[66:67], v[30:31], s[4:5], v[28:29]
	v_fma_f64 v[64:65], v[30:31], s[4:5], v[64:65]
	v_fma_f64 v[20:21], v[34:35], 2.0, -v[68:69]
	v_fma_f64 v[34:35], v[44:45], 2.0, -v[72:73]
	v_fma_f64 v[6:7], v[38:39], s[4:5], v[32:33]
	v_fma_f64 v[44:45], v[2:3], 2.0, -v[76:77]
	v_fma_f64 v[46:47], v[0:1], 2.0, -v[78:79]
	v_fma_f64 v[0:1], v[10:11], s[6:7], v[40:41]
	v_fma_f64 v[2:3], v[8:9], s[6:7], v[26:27]
	;; [unrolled: 1-line block ×3, first 2 shown]
	v_fma_f64 v[52:53], v[52:53], 2.0, -v[56:57]
	v_fma_f64 v[54:55], v[54:55], 2.0, -v[16:17]
	;; [unrolled: 1-line block ×4, first 2 shown]
	v_add_f64 v[74:75], v[12:13], v[14:15]
	v_add_f64 v[62:63], v[16:17], v[62:63]
	v_fma_f64 v[66:67], v[22:23], s[6:7], v[66:67]
	v_fma_f64 v[30:31], v[18:19], 2.0, -v[64:65]
	v_fma_f64 v[36:37], v[36:37], s[6:7], v[6:7]
	v_fma_f64 v[80:81], v[8:9], s[4:5], v[0:1]
	v_fma_f64 v[82:83], v[10:11], s[6:7], v[2:3]
	v_fma_f64 v[6:7], v[50:51], 2.0, -v[38:39]
	v_add_f64 v[48:49], v[52:53], -v[58:59]
	v_add_f64 v[58:59], v[54:55], -v[60:61]
	;; [unrolled: 1-line block ×3, first 2 shown]
	v_fma_f64 v[22:23], v[42:43], 2.0, -v[70:71]
	v_fma_f64 v[42:43], v[12:13], 2.0, -v[74:75]
	;; [unrolled: 1-line block ×7, first 2 shown]
	v_fma_f64 v[16:17], v[6:7], s[8:9], v[30:31]
	v_fma_f64 v[10:11], v[56:57], 2.0, -v[60:61]
	v_fma_f64 v[0:1], v[52:53], 2.0, -v[48:49]
	v_fma_f64 v[26:27], v[8:9], s[4:5], v[42:43]
	v_fma_f64 v[2:3], v[54:55], 2.0, -v[58:59]
	v_fma_f64 v[18:19], v[4:5], s[8:9], v[28:29]
	v_fma_f64 v[32:33], v[14:15], s[12:13], v[44:45]
	v_fma_f64 v[40:41], v[38:39], s[14:15], v[64:65]
	v_fma_f64 v[4:5], v[4:5], s[12:13], v[16:17]
	v_fma_f64 v[16:17], v[12:13], s[12:13], v[46:47]
	v_fma_f64 v[24:25], v[10:11], s[4:5], v[34:35]
	v_fma_f64 v[10:11], v[10:11], s[6:7], v[26:27]
	v_add_f64 v[0:1], v[20:21], -v[0:1]
	v_add_f64 v[2:3], v[22:23], -v[2:3]
	v_fma_f64 v[6:7], v[6:7], s[14:15], v[18:19]
	v_fma_f64 v[12:13], v[12:13], s[8:9], v[32:33]
	;; [unrolled: 1-line block ×5, first 2 shown]
	v_fma_f64 v[26:27], v[42:43], 2.0, -v[10:11]
	v_fma_f64 v[42:43], v[36:37], s[14:15], v[66:67]
	v_fma_f64 v[16:17], v[20:21], 2.0, -v[0:1]
	v_fma_f64 v[18:19], v[22:23], 2.0, -v[2:3]
	;; [unrolled: 1-line block ×6, first 2 shown]
	v_fma_f64 v[44:45], v[60:61], s[6:7], v[72:73]
	v_fma_f64 v[46:47], v[62:63], s[6:7], v[74:75]
	;; [unrolled: 1-line block ×3, first 2 shown]
	v_fma_f64 v[24:25], v[34:35], 2.0, -v[8:9]
	v_add_f64 v[32:33], v[68:69], -v[58:59]
	v_add_f64 v[34:35], v[70:71], v[48:49]
	v_fma_f64 v[36:37], v[36:37], s[8:9], v[40:41]
	v_fma_f64 v[38:39], v[38:39], s[16:17], v[42:43]
	v_fma_f64 v[40:41], v[62:63], s[4:5], v[44:45]
	v_fma_f64 v[42:43], v[60:61], s[6:7], v[46:47]
	v_fma_f64 v[44:45], v[82:83], s[12:13], v[50:51]
	v_fma_f64 v[46:47], v[80:81], s[14:15], v[52:53]
	v_fma_f64 v[48:49], v[68:69], 2.0, -v[32:33]
	v_fma_f64 v[50:51], v[70:71], 2.0, -v[34:35]
	;; [unrolled: 1-line block ×8, first 2 shown]
	s_barrier
	ds_write_b128 v108, v[16:19]
	ds_write_b128 v108, v[20:23] offset:2000
	ds_write_b128 v108, v[24:27] offset:4000
	;; [unrolled: 1-line block ×15, first 2 shown]
	s_waitcnt lgkmcnt(0)
	s_barrier
	s_and_saveexec_b64 s[4:5], s[0:1]
	s_cbranch_execz .LBB0_31
; %bb.30:
	v_mul_lo_u32 v0, s3, v92
	v_mul_lo_u32 v1, s2, v93
	v_mad_u64_u32 v[4:5], s[0:1], s2, v92, 0
	v_mov_b32_e32 v6, s11
	v_lshl_add_u32 v10, v90, 4, 0
	v_add3_u32 v5, v5, v1, v0
	v_lshlrev_b64 v[4:5], 4, v[4:5]
	v_mov_b32_e32 v91, 0
	v_add_co_u32_e32 v7, vcc, s10, v4
	v_addc_co_u32_e32 v6, vcc, v6, v5, vcc
	v_lshlrev_b64 v[4:5], 4, v[88:89]
	ds_read_b128 v[0:3], v10
	v_add_co_u32_e32 v11, vcc, v7, v4
	v_addc_co_u32_e32 v12, vcc, v6, v5, vcc
	v_lshlrev_b64 v[4:5], 4, v[90:91]
	v_add_co_u32_e32 v8, vcc, v11, v4
	v_addc_co_u32_e32 v9, vcc, v12, v5, vcc
	ds_read_b128 v[4:7], v10 offset:2000
	s_waitcnt lgkmcnt(1)
	global_store_dwordx4 v[8:9], v[0:3], off
	s_nop 0
	v_add_u32_e32 v0, 0x7d, v90
	v_mov_b32_e32 v1, v91
	v_lshlrev_b64 v[0:1], 4, v[0:1]
	v_add_co_u32_e32 v0, vcc, v11, v0
	v_addc_co_u32_e32 v1, vcc, v12, v1, vcc
	s_waitcnt lgkmcnt(0)
	global_store_dwordx4 v[0:1], v[4:7], off
	ds_read_b128 v[0:3], v10 offset:4000
	v_add_u32_e32 v4, 0xfa, v90
	v_mov_b32_e32 v5, v91
	v_lshlrev_b64 v[4:5], 4, v[4:5]
	v_add_co_u32_e32 v8, vcc, v11, v4
	v_addc_co_u32_e32 v9, vcc, v12, v5, vcc
	ds_read_b128 v[4:7], v10 offset:6000
	s_waitcnt lgkmcnt(1)
	global_store_dwordx4 v[8:9], v[0:3], off
	s_nop 0
	v_add_u32_e32 v0, 0x177, v90
	v_mov_b32_e32 v1, v91
	v_lshlrev_b64 v[0:1], 4, v[0:1]
	v_add_co_u32_e32 v0, vcc, v11, v0
	v_addc_co_u32_e32 v1, vcc, v12, v1, vcc
	s_waitcnt lgkmcnt(0)
	global_store_dwordx4 v[0:1], v[4:7], off
	ds_read_b128 v[0:3], v10 offset:8000
	v_add_u32_e32 v4, 0x1f4, v90
	v_mov_b32_e32 v5, v91
	;; [unrolled: 17-line block ×7, first 2 shown]
	v_lshlrev_b64 v[4:5], 4, v[4:5]
	v_add_u32_e32 v90, 0x753, v90
	v_add_co_u32_e32 v8, vcc, v11, v4
	v_addc_co_u32_e32 v9, vcc, v12, v5, vcc
	ds_read_b128 v[4:7], v10 offset:30000
	s_waitcnt lgkmcnt(1)
	global_store_dwordx4 v[8:9], v[0:3], off
	s_nop 0
	v_lshlrev_b64 v[0:1], 4, v[90:91]
	v_add_co_u32_e32 v0, vcc, v11, v0
	v_addc_co_u32_e32 v1, vcc, v12, v1, vcc
	s_waitcnt lgkmcnt(0)
	global_store_dwordx4 v[0:1], v[4:7], off
.LBB0_31:
	s_endpgm
	.section	.rodata,"a",@progbits
	.p2align	6, 0x0
	.amdhsa_kernel fft_rtc_fwd_len2000_factors_5_5_5_16_wgs_125_tpt_125_halfLds_dp_op_CI_CI_unitstride_sbrr_C2R_dirReg
		.amdhsa_group_segment_fixed_size 0
		.amdhsa_private_segment_fixed_size 0
		.amdhsa_kernarg_size 104
		.amdhsa_user_sgpr_count 6
		.amdhsa_user_sgpr_private_segment_buffer 1
		.amdhsa_user_sgpr_dispatch_ptr 0
		.amdhsa_user_sgpr_queue_ptr 0
		.amdhsa_user_sgpr_kernarg_segment_ptr 1
		.amdhsa_user_sgpr_dispatch_id 0
		.amdhsa_user_sgpr_flat_scratch_init 0
		.amdhsa_user_sgpr_private_segment_size 0
		.amdhsa_uses_dynamic_stack 0
		.amdhsa_system_sgpr_private_segment_wavefront_offset 0
		.amdhsa_system_sgpr_workgroup_id_x 1
		.amdhsa_system_sgpr_workgroup_id_y 0
		.amdhsa_system_sgpr_workgroup_id_z 0
		.amdhsa_system_sgpr_workgroup_info 0
		.amdhsa_system_vgpr_workitem_id 0
		.amdhsa_next_free_vgpr 140
		.amdhsa_next_free_sgpr 28
		.amdhsa_reserve_vcc 1
		.amdhsa_reserve_flat_scratch 0
		.amdhsa_float_round_mode_32 0
		.amdhsa_float_round_mode_16_64 0
		.amdhsa_float_denorm_mode_32 3
		.amdhsa_float_denorm_mode_16_64 3
		.amdhsa_dx10_clamp 1
		.amdhsa_ieee_mode 1
		.amdhsa_fp16_overflow 0
		.amdhsa_exception_fp_ieee_invalid_op 0
		.amdhsa_exception_fp_denorm_src 0
		.amdhsa_exception_fp_ieee_div_zero 0
		.amdhsa_exception_fp_ieee_overflow 0
		.amdhsa_exception_fp_ieee_underflow 0
		.amdhsa_exception_fp_ieee_inexact 0
		.amdhsa_exception_int_div_zero 0
	.end_amdhsa_kernel
	.text
.Lfunc_end0:
	.size	fft_rtc_fwd_len2000_factors_5_5_5_16_wgs_125_tpt_125_halfLds_dp_op_CI_CI_unitstride_sbrr_C2R_dirReg, .Lfunc_end0-fft_rtc_fwd_len2000_factors_5_5_5_16_wgs_125_tpt_125_halfLds_dp_op_CI_CI_unitstride_sbrr_C2R_dirReg
                                        ; -- End function
	.section	.AMDGPU.csdata,"",@progbits
; Kernel info:
; codeLenInByte = 14744
; NumSgprs: 32
; NumVgprs: 140
; ScratchSize: 0
; MemoryBound: 0
; FloatMode: 240
; IeeeMode: 1
; LDSByteSize: 0 bytes/workgroup (compile time only)
; SGPRBlocks: 3
; VGPRBlocks: 34
; NumSGPRsForWavesPerEU: 32
; NumVGPRsForWavesPerEU: 140
; Occupancy: 1
; WaveLimiterHint : 1
; COMPUTE_PGM_RSRC2:SCRATCH_EN: 0
; COMPUTE_PGM_RSRC2:USER_SGPR: 6
; COMPUTE_PGM_RSRC2:TRAP_HANDLER: 0
; COMPUTE_PGM_RSRC2:TGID_X_EN: 1
; COMPUTE_PGM_RSRC2:TGID_Y_EN: 0
; COMPUTE_PGM_RSRC2:TGID_Z_EN: 0
; COMPUTE_PGM_RSRC2:TIDIG_COMP_CNT: 0
	.type	__hip_cuid_7388deff54b9acc,@object ; @__hip_cuid_7388deff54b9acc
	.section	.bss,"aw",@nobits
	.globl	__hip_cuid_7388deff54b9acc
__hip_cuid_7388deff54b9acc:
	.byte	0                               ; 0x0
	.size	__hip_cuid_7388deff54b9acc, 1

	.ident	"AMD clang version 19.0.0git (https://github.com/RadeonOpenCompute/llvm-project roc-6.4.0 25133 c7fe45cf4b819c5991fe208aaa96edf142730f1d)"
	.section	".note.GNU-stack","",@progbits
	.addrsig
	.addrsig_sym __hip_cuid_7388deff54b9acc
	.amdgpu_metadata
---
amdhsa.kernels:
  - .args:
      - .actual_access:  read_only
        .address_space:  global
        .offset:         0
        .size:           8
        .value_kind:     global_buffer
      - .offset:         8
        .size:           8
        .value_kind:     by_value
      - .actual_access:  read_only
        .address_space:  global
        .offset:         16
        .size:           8
        .value_kind:     global_buffer
      - .actual_access:  read_only
        .address_space:  global
        .offset:         24
        .size:           8
        .value_kind:     global_buffer
      - .actual_access:  read_only
        .address_space:  global
        .offset:         32
        .size:           8
        .value_kind:     global_buffer
      - .offset:         40
        .size:           8
        .value_kind:     by_value
      - .actual_access:  read_only
        .address_space:  global
        .offset:         48
        .size:           8
        .value_kind:     global_buffer
      - .actual_access:  read_only
        .address_space:  global
        .offset:         56
        .size:           8
        .value_kind:     global_buffer
      - .offset:         64
        .size:           4
        .value_kind:     by_value
      - .actual_access:  read_only
        .address_space:  global
        .offset:         72
        .size:           8
        .value_kind:     global_buffer
      - .actual_access:  read_only
        .address_space:  global
        .offset:         80
        .size:           8
        .value_kind:     global_buffer
      - .actual_access:  read_only
        .address_space:  global
        .offset:         88
        .size:           8
        .value_kind:     global_buffer
      - .actual_access:  write_only
        .address_space:  global
        .offset:         96
        .size:           8
        .value_kind:     global_buffer
    .group_segment_fixed_size: 0
    .kernarg_segment_align: 8
    .kernarg_segment_size: 104
    .language:       OpenCL C
    .language_version:
      - 2
      - 0
    .max_flat_workgroup_size: 125
    .name:           fft_rtc_fwd_len2000_factors_5_5_5_16_wgs_125_tpt_125_halfLds_dp_op_CI_CI_unitstride_sbrr_C2R_dirReg
    .private_segment_fixed_size: 0
    .sgpr_count:     32
    .sgpr_spill_count: 0
    .symbol:         fft_rtc_fwd_len2000_factors_5_5_5_16_wgs_125_tpt_125_halfLds_dp_op_CI_CI_unitstride_sbrr_C2R_dirReg.kd
    .uniform_work_group_size: 1
    .uses_dynamic_stack: false
    .vgpr_count:     140
    .vgpr_spill_count: 0
    .wavefront_size: 64
amdhsa.target:   amdgcn-amd-amdhsa--gfx906
amdhsa.version:
  - 1
  - 2
...

	.end_amdgpu_metadata
